;; amdgpu-corpus repo=ROCm/rocFFT kind=compiled arch=gfx1201 opt=O3
	.text
	.amdgcn_target "amdgcn-amd-amdhsa--gfx1201"
	.amdhsa_code_object_version 6
	.protected	fft_rtc_back_len595_factors_7_17_5_wgs_51_tpt_17_halfLds_sp_op_CI_CI_unitstride_sbrr_dirReg ; -- Begin function fft_rtc_back_len595_factors_7_17_5_wgs_51_tpt_17_halfLds_sp_op_CI_CI_unitstride_sbrr_dirReg
	.globl	fft_rtc_back_len595_factors_7_17_5_wgs_51_tpt_17_halfLds_sp_op_CI_CI_unitstride_sbrr_dirReg
	.p2align	8
	.type	fft_rtc_back_len595_factors_7_17_5_wgs_51_tpt_17_halfLds_sp_op_CI_CI_unitstride_sbrr_dirReg,@function
fft_rtc_back_len595_factors_7_17_5_wgs_51_tpt_17_halfLds_sp_op_CI_CI_unitstride_sbrr_dirReg: ; @fft_rtc_back_len595_factors_7_17_5_wgs_51_tpt_17_halfLds_sp_op_CI_CI_unitstride_sbrr_dirReg
; %bb.0:
	s_load_b128 s[8:11], s[0:1], 0x0
	v_mul_u32_u24_e32 v1, 0xf10, v0
	s_clause 0x1
	s_load_b128 s[4:7], s[0:1], 0x58
	s_load_b128 s[12:15], s[0:1], 0x18
	s_delay_alu instid0(VALU_DEP_1) | instskip(SKIP_3) | instid1(VALU_DEP_4)
	v_lshrrev_b32_e32 v2, 16, v1
	v_mov_b32_e32 v1, 0
	v_mov_b32_e32 v5, 0
	v_mov_b32_e32 v6, 0
	v_mad_co_u64_u32 v[3:4], null, ttmp9, 3, v[2:3]
	s_delay_alu instid0(VALU_DEP_2) | instskip(NEXT) | instid1(VALU_DEP_1)
	v_dual_mov_b32 v4, v1 :: v_dual_mov_b32 v33, v6
	v_dual_mov_b32 v32, v5 :: v_dual_mov_b32 v35, v4
	s_delay_alu instid0(VALU_DEP_3) | instskip(SKIP_2) | instid1(VALU_DEP_1)
	v_mov_b32_e32 v34, v3
	s_wait_kmcnt 0x0
	v_cmp_lt_u64_e64 s2, s[10:11], 2
	s_and_b32 vcc_lo, exec_lo, s2
	s_cbranch_vccnz .LBB0_8
; %bb.1:
	s_load_b64 s[2:3], s[0:1], 0x10
	v_dual_mov_b32 v5, 0 :: v_dual_mov_b32 v8, v4
	v_dual_mov_b32 v6, 0 :: v_dual_mov_b32 v7, v3
	s_add_nc_u64 s[16:17], s[14:15], 8
	s_add_nc_u64 s[18:19], s[12:13], 8
	s_mov_b64 s[20:21], 1
	s_delay_alu instid0(VALU_DEP_1)
	v_dual_mov_b32 v33, v6 :: v_dual_mov_b32 v32, v5
	s_wait_kmcnt 0x0
	s_add_nc_u64 s[22:23], s[2:3], 8
	s_mov_b32 s3, 0
.LBB0_2:                                ; =>This Inner Loop Header: Depth=1
	s_load_b64 s[24:25], s[22:23], 0x0
                                        ; implicit-def: $vgpr34_vgpr35
	s_mov_b32 s2, exec_lo
	s_wait_kmcnt 0x0
	v_or_b32_e32 v2, s25, v8
	s_delay_alu instid0(VALU_DEP_1)
	v_cmpx_ne_u64_e32 0, v[1:2]
	s_wait_alu 0xfffe
	s_xor_b32 s26, exec_lo, s2
	s_cbranch_execz .LBB0_4
; %bb.3:                                ;   in Loop: Header=BB0_2 Depth=1
	s_cvt_f32_u32 s2, s24
	s_cvt_f32_u32 s27, s25
	s_sub_nc_u64 s[30:31], 0, s[24:25]
	s_wait_alu 0xfffe
	s_delay_alu instid0(SALU_CYCLE_1) | instskip(SKIP_1) | instid1(SALU_CYCLE_2)
	s_fmamk_f32 s2, s27, 0x4f800000, s2
	s_wait_alu 0xfffe
	v_s_rcp_f32 s2, s2
	s_delay_alu instid0(TRANS32_DEP_1) | instskip(SKIP_1) | instid1(SALU_CYCLE_2)
	s_mul_f32 s2, s2, 0x5f7ffffc
	s_wait_alu 0xfffe
	s_mul_f32 s27, s2, 0x2f800000
	s_wait_alu 0xfffe
	s_delay_alu instid0(SALU_CYCLE_2) | instskip(SKIP_1) | instid1(SALU_CYCLE_2)
	s_trunc_f32 s27, s27
	s_wait_alu 0xfffe
	s_fmamk_f32 s2, s27, 0xcf800000, s2
	s_cvt_u32_f32 s29, s27
	s_wait_alu 0xfffe
	s_delay_alu instid0(SALU_CYCLE_1) | instskip(SKIP_1) | instid1(SALU_CYCLE_2)
	s_cvt_u32_f32 s28, s2
	s_wait_alu 0xfffe
	s_mul_u64 s[34:35], s[30:31], s[28:29]
	s_wait_alu 0xfffe
	s_mul_hi_u32 s37, s28, s35
	s_mul_i32 s36, s28, s35
	s_mul_hi_u32 s2, s28, s34
	s_mul_i32 s33, s29, s34
	s_wait_alu 0xfffe
	s_add_nc_u64 s[36:37], s[2:3], s[36:37]
	s_mul_hi_u32 s27, s29, s34
	s_mul_hi_u32 s38, s29, s35
	s_add_co_u32 s2, s36, s33
	s_wait_alu 0xfffe
	s_add_co_ci_u32 s2, s37, s27
	s_mul_i32 s34, s29, s35
	s_add_co_ci_u32 s35, s38, 0
	s_wait_alu 0xfffe
	s_add_nc_u64 s[34:35], s[2:3], s[34:35]
	s_wait_alu 0xfffe
	v_add_co_u32 v2, s2, s28, s34
	s_delay_alu instid0(VALU_DEP_1) | instskip(SKIP_1) | instid1(VALU_DEP_1)
	s_cmp_lg_u32 s2, 0
	s_add_co_ci_u32 s29, s29, s35
	v_readfirstlane_b32 s28, v2
	s_wait_alu 0xfffe
	s_delay_alu instid0(VALU_DEP_1)
	s_mul_u64 s[30:31], s[30:31], s[28:29]
	s_wait_alu 0xfffe
	s_mul_hi_u32 s35, s28, s31
	s_mul_i32 s34, s28, s31
	s_mul_hi_u32 s2, s28, s30
	s_mul_i32 s33, s29, s30
	s_wait_alu 0xfffe
	s_add_nc_u64 s[34:35], s[2:3], s[34:35]
	s_mul_hi_u32 s27, s29, s30
	s_mul_hi_u32 s28, s29, s31
	s_wait_alu 0xfffe
	s_add_co_u32 s2, s34, s33
	s_add_co_ci_u32 s2, s35, s27
	s_mul_i32 s30, s29, s31
	s_add_co_ci_u32 s31, s28, 0
	s_wait_alu 0xfffe
	s_add_nc_u64 s[30:31], s[2:3], s[30:31]
	s_wait_alu 0xfffe
	v_add_co_u32 v2, s2, v2, s30
	s_delay_alu instid0(VALU_DEP_1) | instskip(SKIP_1) | instid1(VALU_DEP_1)
	s_cmp_lg_u32 s2, 0
	s_add_co_ci_u32 s2, s29, s31
	v_mul_hi_u32 v4, v7, v2
	s_wait_alu 0xfffe
	v_mad_co_u64_u32 v[9:10], null, v7, s2, 0
	v_mad_co_u64_u32 v[11:12], null, v8, v2, 0
	;; [unrolled: 1-line block ×3, first 2 shown]
	s_delay_alu instid0(VALU_DEP_3) | instskip(SKIP_1) | instid1(VALU_DEP_4)
	v_add_co_u32 v2, vcc_lo, v4, v9
	s_wait_alu 0xfffd
	v_add_co_ci_u32_e32 v4, vcc_lo, 0, v10, vcc_lo
	s_delay_alu instid0(VALU_DEP_2) | instskip(SKIP_1) | instid1(VALU_DEP_2)
	v_add_co_u32 v2, vcc_lo, v2, v11
	s_wait_alu 0xfffd
	v_add_co_ci_u32_e32 v2, vcc_lo, v4, v12, vcc_lo
	s_wait_alu 0xfffd
	v_add_co_ci_u32_e32 v4, vcc_lo, 0, v14, vcc_lo
	s_delay_alu instid0(VALU_DEP_2) | instskip(SKIP_1) | instid1(VALU_DEP_2)
	v_add_co_u32 v2, vcc_lo, v2, v13
	s_wait_alu 0xfffd
	v_add_co_ci_u32_e32 v4, vcc_lo, 0, v4, vcc_lo
	s_delay_alu instid0(VALU_DEP_2) | instskip(SKIP_1) | instid1(VALU_DEP_3)
	v_mul_lo_u32 v11, s25, v2
	v_mad_co_u64_u32 v[9:10], null, s24, v2, 0
	v_mul_lo_u32 v12, s24, v4
	s_delay_alu instid0(VALU_DEP_2) | instskip(NEXT) | instid1(VALU_DEP_2)
	v_sub_co_u32 v9, vcc_lo, v7, v9
	v_add3_u32 v10, v10, v12, v11
	s_delay_alu instid0(VALU_DEP_1) | instskip(SKIP_1) | instid1(VALU_DEP_1)
	v_sub_nc_u32_e32 v11, v8, v10
	s_wait_alu 0xfffd
	v_subrev_co_ci_u32_e64 v11, s2, s25, v11, vcc_lo
	v_add_co_u32 v12, s2, v2, 2
	s_wait_alu 0xf1ff
	v_add_co_ci_u32_e64 v13, s2, 0, v4, s2
	v_sub_co_u32 v14, s2, v9, s24
	v_sub_co_ci_u32_e32 v10, vcc_lo, v8, v10, vcc_lo
	s_wait_alu 0xf1ff
	v_subrev_co_ci_u32_e64 v11, s2, 0, v11, s2
	s_delay_alu instid0(VALU_DEP_3) | instskip(NEXT) | instid1(VALU_DEP_3)
	v_cmp_le_u32_e32 vcc_lo, s24, v14
	v_cmp_eq_u32_e64 s2, s25, v10
	s_wait_alu 0xfffd
	v_cndmask_b32_e64 v14, 0, -1, vcc_lo
	v_cmp_le_u32_e32 vcc_lo, s25, v11
	s_wait_alu 0xfffd
	v_cndmask_b32_e64 v15, 0, -1, vcc_lo
	v_cmp_le_u32_e32 vcc_lo, s24, v9
	;; [unrolled: 3-line block ×3, first 2 shown]
	s_wait_alu 0xfffd
	v_cndmask_b32_e64 v16, 0, -1, vcc_lo
	v_cmp_eq_u32_e32 vcc_lo, s25, v11
	s_wait_alu 0xf1ff
	s_delay_alu instid0(VALU_DEP_2)
	v_cndmask_b32_e64 v9, v16, v9, s2
	s_wait_alu 0xfffd
	v_cndmask_b32_e32 v11, v15, v14, vcc_lo
	v_add_co_u32 v14, vcc_lo, v2, 1
	s_wait_alu 0xfffd
	v_add_co_ci_u32_e32 v15, vcc_lo, 0, v4, vcc_lo
	s_delay_alu instid0(VALU_DEP_3) | instskip(SKIP_1) | instid1(VALU_DEP_2)
	v_cmp_ne_u32_e32 vcc_lo, 0, v11
	s_wait_alu 0xfffd
	v_dual_cndmask_b32 v10, v15, v13 :: v_dual_cndmask_b32 v11, v14, v12
	v_cmp_ne_u32_e32 vcc_lo, 0, v9
	s_wait_alu 0xfffd
	s_delay_alu instid0(VALU_DEP_2)
	v_dual_cndmask_b32 v35, v4, v10 :: v_dual_cndmask_b32 v34, v2, v11
.LBB0_4:                                ;   in Loop: Header=BB0_2 Depth=1
	s_wait_alu 0xfffe
	s_and_not1_saveexec_b32 s2, s26
	s_cbranch_execz .LBB0_6
; %bb.5:                                ;   in Loop: Header=BB0_2 Depth=1
	v_cvt_f32_u32_e32 v2, s24
	s_sub_co_i32 s26, 0, s24
	v_mov_b32_e32 v35, v1
	s_delay_alu instid0(VALU_DEP_2) | instskip(NEXT) | instid1(TRANS32_DEP_1)
	v_rcp_iflag_f32_e32 v2, v2
	v_mul_f32_e32 v2, 0x4f7ffffe, v2
	s_delay_alu instid0(VALU_DEP_1) | instskip(SKIP_1) | instid1(VALU_DEP_1)
	v_cvt_u32_f32_e32 v2, v2
	s_wait_alu 0xfffe
	v_mul_lo_u32 v4, s26, v2
	s_delay_alu instid0(VALU_DEP_1) | instskip(NEXT) | instid1(VALU_DEP_1)
	v_mul_hi_u32 v4, v2, v4
	v_add_nc_u32_e32 v2, v2, v4
	s_delay_alu instid0(VALU_DEP_1) | instskip(NEXT) | instid1(VALU_DEP_1)
	v_mul_hi_u32 v2, v7, v2
	v_mul_lo_u32 v4, v2, s24
	v_add_nc_u32_e32 v9, 1, v2
	s_delay_alu instid0(VALU_DEP_2) | instskip(NEXT) | instid1(VALU_DEP_1)
	v_sub_nc_u32_e32 v4, v7, v4
	v_subrev_nc_u32_e32 v10, s24, v4
	v_cmp_le_u32_e32 vcc_lo, s24, v4
	s_wait_alu 0xfffd
	s_delay_alu instid0(VALU_DEP_2) | instskip(SKIP_1) | instid1(VALU_DEP_2)
	v_cndmask_b32_e32 v4, v4, v10, vcc_lo
	v_cndmask_b32_e32 v2, v2, v9, vcc_lo
	v_cmp_le_u32_e32 vcc_lo, s24, v4
	s_delay_alu instid0(VALU_DEP_2) | instskip(SKIP_1) | instid1(VALU_DEP_1)
	v_add_nc_u32_e32 v9, 1, v2
	s_wait_alu 0xfffd
	v_cndmask_b32_e32 v34, v2, v9, vcc_lo
.LBB0_6:                                ;   in Loop: Header=BB0_2 Depth=1
	s_wait_alu 0xfffe
	s_or_b32 exec_lo, exec_lo, s2
	v_mul_lo_u32 v2, v35, s24
	s_delay_alu instid0(VALU_DEP_2)
	v_mul_lo_u32 v4, v34, s25
	s_load_b64 s[26:27], s[18:19], 0x0
	v_mad_co_u64_u32 v[9:10], null, v34, s24, 0
	s_load_b64 s[24:25], s[16:17], 0x0
	s_add_nc_u64 s[20:21], s[20:21], 1
	s_add_nc_u64 s[16:17], s[16:17], 8
	s_wait_alu 0xfffe
	v_cmp_ge_u64_e64 s2, s[20:21], s[10:11]
	s_add_nc_u64 s[18:19], s[18:19], 8
	s_add_nc_u64 s[22:23], s[22:23], 8
	v_add3_u32 v2, v10, v4, v2
	v_sub_co_u32 v4, vcc_lo, v7, v9
	s_wait_alu 0xfffd
	s_delay_alu instid0(VALU_DEP_2) | instskip(SKIP_2) | instid1(VALU_DEP_1)
	v_sub_co_ci_u32_e32 v2, vcc_lo, v8, v2, vcc_lo
	s_and_b32 vcc_lo, exec_lo, s2
	s_wait_kmcnt 0x0
	v_mul_lo_u32 v7, s26, v2
	v_mul_lo_u32 v8, s27, v4
	v_mad_co_u64_u32 v[5:6], null, s26, v4, v[5:6]
	v_mul_lo_u32 v2, s24, v2
	v_mul_lo_u32 v9, s25, v4
	v_mad_co_u64_u32 v[32:33], null, s24, v4, v[32:33]
	s_delay_alu instid0(VALU_DEP_4) | instskip(NEXT) | instid1(VALU_DEP_2)
	v_add3_u32 v6, v8, v6, v7
	v_add3_u32 v33, v9, v33, v2
	s_wait_alu 0xfffe
	s_cbranch_vccnz .LBB0_8
; %bb.7:                                ;   in Loop: Header=BB0_2 Depth=1
	v_dual_mov_b32 v7, v34 :: v_dual_mov_b32 v8, v35
	s_branch .LBB0_2
.LBB0_8:
	s_load_b64 s[0:1], s[0:1], 0x28
	v_mul_hi_u32 v4, 0xf0f0f10, v0
	s_lshl_b64 s[10:11], s[10:11], 3
                                        ; implicit-def: $sgpr2_sgpr3
                                        ; implicit-def: $vgpr125
	s_wait_kmcnt 0x0
	v_cmp_gt_u64_e32 vcc_lo, s[0:1], v[34:35]
	v_cmp_le_u64_e64 s0, s[0:1], v[34:35]
	s_delay_alu instid0(VALU_DEP_1)
	s_and_saveexec_b32 s1, s0
	s_wait_alu 0xfffe
	s_xor_b32 s0, exec_lo, s1
; %bb.9:
	v_mul_u32_u24_e32 v1, 17, v4
	s_mov_b64 s[2:3], 0
                                        ; implicit-def: $vgpr4
                                        ; implicit-def: $vgpr5_vgpr6
	s_delay_alu instid0(VALU_DEP_1)
	v_sub_nc_u32_e32 v125, v0, v1
                                        ; implicit-def: $vgpr0
; %bb.10:
	s_wait_alu 0xfffe
	s_or_saveexec_b32 s1, s0
	v_dual_mov_b32 v112, s3 :: v_dual_mov_b32 v111, s2
	v_dual_mov_b32 v118, s3 :: v_dual_mov_b32 v117, s2
	;; [unrolled: 1-line block ×20, first 2 shown]
	s_add_nc_u64 s[2:3], s[14:15], s[10:11]
                                        ; implicit-def: $vgpr120
                                        ; implicit-def: $vgpr122
                                        ; implicit-def: $vgpr124
                                        ; implicit-def: $vgpr100
                                        ; implicit-def: $vgpr90
                                        ; implicit-def: $vgpr104
                                        ; implicit-def: $vgpr84
                                        ; implicit-def: $vgpr74
                                        ; implicit-def: $vgpr68
                                        ; implicit-def: $vgpr66
                                        ; implicit-def: $vgpr92
                                        ; implicit-def: $vgpr80
                                        ; implicit-def: $vgpr106
                                        ; implicit-def: $vgpr108
                                        ; implicit-def: $vgpr116
	s_wait_alu 0xfffe
	s_xor_b32 exec_lo, exec_lo, s1
	s_cbranch_execz .LBB0_12
; %bb.11:
	s_add_nc_u64 s[10:11], s[12:13], s[10:11]
	s_load_b64 s[10:11], s[10:11], 0x0
	s_wait_kmcnt 0x0
	v_mul_lo_u32 v7, s11, v34
	v_mul_lo_u32 v8, s10, v35
	v_mad_co_u64_u32 v[1:2], null, s10, v34, 0
	s_delay_alu instid0(VALU_DEP_1) | instskip(SKIP_2) | instid1(VALU_DEP_3)
	v_add3_u32 v2, v2, v8, v7
	v_mul_u32_u24_e32 v7, 17, v4
	v_lshlrev_b64_e32 v[4:5], 3, v[5:6]
	v_lshlrev_b64_e32 v[1:2], 3, v[1:2]
	s_delay_alu instid0(VALU_DEP_3) | instskip(NEXT) | instid1(VALU_DEP_2)
	v_sub_nc_u32_e32 v125, v0, v7
	v_add_co_u32 v0, s0, s4, v1
	s_wait_alu 0xf1ff
	s_delay_alu instid0(VALU_DEP_3) | instskip(NEXT) | instid1(VALU_DEP_3)
	v_add_co_ci_u32_e64 v1, s0, s5, v2, s0
	v_lshlrev_b32_e32 v2, 3, v125
	s_delay_alu instid0(VALU_DEP_3) | instskip(SKIP_1) | instid1(VALU_DEP_3)
	v_add_co_u32 v0, s0, v0, v4
	s_wait_alu 0xf1ff
	v_add_co_ci_u32_e64 v1, s0, v1, v5, s0
	s_delay_alu instid0(VALU_DEP_2) | instskip(SKIP_1) | instid1(VALU_DEP_2)
	v_add_co_u32 v4, s0, v0, v2
	s_wait_alu 0xf1ff
	v_add_co_ci_u32_e64 v5, s0, 0, v1, s0
	s_clause 0x1f
	global_load_b64 v[93:94], v[4:5], off offset:1496
	global_load_b64 v[105:106], v[4:5], off offset:4216
	;; [unrolled: 1-line block ×6, first 2 shown]
	global_load_b64 v[109:110], v[4:5], off
	global_load_b64 v[95:96], v[4:5], off offset:136
	global_load_b64 v[77:78], v[4:5], off offset:272
	;; [unrolled: 1-line block ×25, first 2 shown]
	s_clause 0x2
	global_load_b64 v[103:104], v[4:5], off offset:4352
	global_load_b64 v[91:92], v[4:5], off offset:4488
	;; [unrolled: 1-line block ×3, first 2 shown]
.LBB0_12:
	s_or_b32 exec_lo, exec_lo, s1
	v_mul_hi_u32 v0, 0xaaaaaaab, v3
	s_wait_loadcnt 0x4
	v_dual_add_f32 v4, v123, v111 :: v_dual_add_f32 v5, v121, v117
	v_dual_sub_f32 v6, v112, v124 :: v_dual_sub_f32 v7, v118, v122
	v_dual_add_f32 v8, v119, v113 :: v_dual_sub_f32 v9, v114, v120
	s_delay_alu instid0(VALU_DEP_3) | instskip(SKIP_1) | instid1(VALU_DEP_3)
	v_dual_add_f32 v10, v4, v5 :: v_dual_sub_f32 v11, v5, v4
	v_lshrrev_b32_e32 v0, 1, v0
	v_dual_sub_f32 v4, v4, v8 :: v_dual_sub_f32 v13, v9, v7
	v_add_f32_e32 v12, v7, v9
	s_delay_alu instid0(VALU_DEP_4) | instskip(NEXT) | instid1(VALU_DEP_4)
	v_dual_sub_f32 v5, v8, v5 :: v_dual_add_f32 v8, v10, v8
	v_lshl_add_u32 v0, v0, 1, v0
	v_sub_f32_e32 v7, v7, v6
	v_dual_sub_f32 v9, v6, v9 :: v_dual_mul_f32 v10, 0x3f4a47b2, v4
	v_lshlrev_b32_e32 v36, 2, v125
	s_delay_alu instid0(VALU_DEP_4) | instskip(SKIP_3) | instid1(VALU_DEP_4)
	v_sub_nc_u32_e32 v0, v3, v0
	v_dual_add_f32 v3, v6, v12 :: v_dual_mul_f32 v12, 0x3f08b237, v13
	v_dual_add_f32 v6, v8, v109 :: v_dual_mul_f32 v13, 0xbf5ff5aa, v7
	v_fma_f32 v10, 0xbf3bfb3b, v11, -v10
	v_mul_u32_u24_e32 v0, 0x253, v0
	s_delay_alu instid0(VALU_DEP_4) | instskip(SKIP_2) | instid1(VALU_DEP_3)
	v_fma_f32 v7, 0xbf5ff5aa, v7, -v12
	v_add_f32_e32 v14, v115, v101
	v_cmp_eq_u32_e64 s0, 0, v125
                                        ; implicit-def: $vgpr138
	v_dual_sub_f32 v16, v102, v116 :: v_dual_fmac_f32 v7, 0xbee1c552, v3
	v_fmamk_f32 v8, v8, 0xbf955555, v6
	v_mul_f32_e32 v5, 0x3d64c772, v5
	s_delay_alu instid0(VALU_DEP_1) | instskip(NEXT) | instid1(VALU_DEP_1)
	v_fmamk_f32 v4, v4, 0x3f4a47b2, v5
	v_add_f32_e32 v4, v4, v8
	v_fma_f32 v5, 0x3f3bfb3b, v11, -v5
	v_fmamk_f32 v11, v9, 0xbeae86e6, v12
	v_fma_f32 v9, 0x3eae86e6, v9, -v13
	s_delay_alu instid0(VALU_DEP_3) | instskip(NEXT) | instid1(VALU_DEP_2)
	v_add_f32_e32 v5, v5, v8
	v_fmac_f32_e32 v9, 0xbee1c552, v3
	s_delay_alu instid0(VALU_DEP_2) | instskip(SKIP_3) | instid1(VALU_DEP_4)
	v_dual_sub_f32 v13, v5, v7 :: v_dual_add_f32 v8, v10, v8
	v_fmac_f32_e32 v11, 0xbee1c552, v3
	v_add_f32_e32 v5, v5, v7
	v_add_f32_e32 v3, v105, v97
	;; [unrolled: 1-line block ×3, first 2 shown]
	s_delay_alu instid0(VALU_DEP_4) | instskip(SKIP_2) | instid1(VALU_DEP_1)
	v_add_f32_e32 v10, v4, v11
	v_sub_f32_e32 v7, v8, v9
	v_dual_add_f32 v8, v107, v93 :: v_dual_sub_f32 v9, v98, v106
	v_dual_sub_f32 v18, v8, v3 :: v_dual_add_f32 v17, v3, v8
	v_dual_sub_f32 v3, v3, v14 :: v_dual_sub_f32 v8, v14, v8
	s_delay_alu instid0(VALU_DEP_1) | instskip(NEXT) | instid1(VALU_DEP_3)
	v_dual_mul_f32 v20, 0x3f4a47b2, v3 :: v_dual_sub_f32 v15, v94, v108
	v_add_f32_e32 v14, v17, v14
	s_delay_alu instid0(VALU_DEP_2) | instskip(NEXT) | instid1(VALU_DEP_1)
	v_dual_mul_f32 v8, 0x3d64c772, v8 :: v_dual_sub_f32 v17, v16, v15
	v_mul_f32_e32 v17, 0x3f08b237, v17
	v_add_f32_e32 v19, v15, v16
	v_dual_sub_f32 v16, v9, v16 :: v_dual_sub_f32 v15, v15, v9
	s_delay_alu instid0(VALU_DEP_4) | instskip(SKIP_2) | instid1(VALU_DEP_4)
	v_fmamk_f32 v3, v3, 0x3f4a47b2, v8
	v_fma_f32 v8, 0x3f3bfb3b, v18, -v8
	v_fma_f32 v18, 0xbf3bfb3b, v18, -v20
	v_dual_fmamk_f32 v20, v16, 0xbeae86e6, v17 :: v_dual_add_f32 v9, v9, v19
	v_add_f32_e32 v19, v14, v95
	s_delay_alu instid0(VALU_DEP_1) | instskip(NEXT) | instid1(VALU_DEP_1)
	v_fmamk_f32 v14, v14, 0xbf955555, v19
	v_add_f32_e32 v8, v8, v14
	s_delay_alu instid0(VALU_DEP_4)
	v_dual_fmac_f32 v20, 0xbee1c552, v9 :: v_dual_lshlrev_b32 v127, 2, v0
	v_dual_sub_f32 v0, v4, v11 :: v_dual_add_f32 v3, v3, v14
	v_dual_mul_f32 v21, 0xbf5ff5aa, v15 :: v_dual_add_f32 v14, v18, v14
	v_fma_f32 v15, 0xbf5ff5aa, v15, -v17
	s_wait_loadcnt 0x2
	v_dual_add_f32 v17, v89, v85 :: v_dual_sub_f32 v18, v82, v104
	v_add_f32_e32 v4, v3, v20
	v_fma_f32 v16, 0x3eae86e6, v16, -v21
	v_fmac_f32_e32 v15, 0xbee1c552, v9
	v_sub_f32_e32 v21, v86, v90
	s_delay_alu instid0(VALU_DEP_3) | instskip(NEXT) | instid1(VALU_DEP_3)
	v_dual_sub_f32 v23, v88, v100 :: v_dual_fmac_f32 v16, 0xbee1c552, v9
	v_sub_f32_e32 v11, v8, v15
	s_delay_alu instid0(VALU_DEP_2) | instskip(NEXT) | instid1(VALU_DEP_3)
	v_dual_add_f32 v8, v8, v15 :: v_dual_sub_f32 v25, v23, v21
	v_dual_add_f32 v9, v14, v16 :: v_dual_add_nc_u32 v128, 0, v127
	v_sub_f32_e32 v14, v14, v16
	v_add_f32_e32 v16, v103, v81
	v_sub_f32_e32 v15, v3, v20
	v_add_f32_e32 v20, v99, v87
	v_mad_u32_u24 v3, v125, 28, v128
	ds_store_2addr_b32 v3, v6, v10 offset1:1
	ds_store_2addr_b32 v3, v12, v13 offset0:2 offset1:3
	ds_store_2addr_b32 v3, v5, v7 offset0:4 offset1:5
	;; [unrolled: 1-line block ×3, first 2 shown]
	v_add_f32_e32 v22, v16, v17
	v_dual_sub_f32 v24, v17, v16 :: v_dual_sub_f32 v17, v20, v17
	v_sub_f32_e32 v16, v16, v20
	ds_store_2addr_b32 v3, v0, v15 offset0:6 offset1:125
	v_add_f32_e32 v20, v22, v20
	v_dual_add_f32 v22, v21, v23 :: v_dual_mul_f32 v17, 0x3d64c772, v17
	v_sub_f32_e32 v23, v18, v23
	s_wait_loadcnt 0x1
	v_dual_sub_f32 v21, v21, v18 :: v_dual_sub_f32 v10, v70, v92
	s_delay_alu instid0(VALU_DEP_3) | instskip(SKIP_2) | instid1(VALU_DEP_4)
	v_add_f32_e32 v18, v18, v22
	v_mul_f32_e32 v22, 0x3f4a47b2, v16
	v_fmamk_f32 v16, v16, 0x3f4a47b2, v17
	v_mul_f32_e32 v27, 0xbf5ff5aa, v21
	v_fma_f32 v17, 0x3f3bfb3b, v24, -v17
	v_sub_f32_e32 v0, v76, v84
	v_fma_f32 v22, 0xbf3bfb3b, v24, -v22
	v_mul_f32_e32 v25, 0x3f08b237, v25
	v_add_f32_e32 v26, v20, v77
	v_fma_f32 v24, 0x3eae86e6, v23, -v27
	v_add3_u32 v126, 0, v36, v127
	v_add_nc_u32_e32 v131, 0x1dc, v3
	v_fmamk_f32 v23, v23, 0xbeae86e6, v25
	v_fmamk_f32 v20, v20, 0xbf955555, v26
	v_fmac_f32_e32 v24, 0xbee1c552, v18
	v_add_nc_u32_e32 v129, 0x600, v126
	v_add_nc_u32_e32 v130, 0x800, v126
	s_delay_alu instid0(VALU_DEP_4)
	v_dual_add_f32 v22, v22, v20 :: v_dual_add_nc_u32 v95, 0x3b8, v3
	v_fma_f32 v21, 0xbf5ff5aa, v21, -v25
	v_add_f32_e32 v25, v79, v71
	v_add_f32_e32 v17, v17, v20
	v_add_nc_u32_e32 v77, 0x770, v3
	v_add_nc_u32_e32 v109, v128, v36
	v_fmac_f32_e32 v21, 0xbee1c552, v18
	s_delay_alu instid0(VALU_DEP_1) | instskip(SKIP_3) | instid1(VALU_DEP_3)
	v_dual_fmac_f32 v23, 0xbee1c552, v18 :: v_dual_sub_f32 v18, v17, v21
	v_dual_add_f32 v17, v17, v21 :: v_dual_add_f32 v16, v16, v20
	v_add_f32_e32 v20, v22, v24
	v_dual_sub_f32 v21, v22, v24 :: v_dual_add_f32 v24, v91, v69
	v_add_f32_e32 v22, v16, v23
	v_sub_f32_e32 v16, v16, v23
	v_dual_sub_f32 v23, v72, v80 :: v_dual_add_f32 v4, v83, v75
	s_delay_alu instid0(VALU_DEP_4)
	v_add_f32_e32 v5, v24, v25
	ds_store_2addr_b32 v3, v9, v11 offset0:121 offset1:122
	ds_store_2addr_b32 v3, v8, v14 offset0:123 offset1:124
	ds_store_2addr_b32 v3, v26, v22 offset0:238 offset1:239
	ds_store_2addr_b32 v3, v20, v18 offset0:240 offset1:241
	s_load_b64 s[2:3], s[2:3], 0x0
	v_sub_f32_e32 v7, v24, v4
	v_sub_f32_e32 v12, v4, v25
	v_add_f32_e32 v4, v5, v4
	s_delay_alu instid0(VALU_DEP_1) | instskip(SKIP_3) | instid1(VALU_DEP_3)
	v_add_f32_e32 v19, v4, v63
	v_dual_sub_f32 v15, v23, v10 :: v_dual_sub_f32 v6, v25, v24
	v_sub_f32_e32 v13, v0, v23
	v_add_f32_e32 v5, v23, v0
	v_dual_sub_f32 v0, v10, v0 :: v_dual_mul_f32 v23, 0xbf5ff5aa, v15
	v_mul_f32_e32 v12, 0x3d64c772, v12
	s_delay_alu instid0(VALU_DEP_4) | instskip(NEXT) | instid1(VALU_DEP_4)
	v_mul_f32_e32 v13, 0x3f08b237, v13
	v_dual_add_f32 v5, v10, v5 :: v_dual_mul_f32 v10, 0x3f4a47b2, v7
	v_fmamk_f32 v4, v4, 0xbf955555, v19
	s_delay_alu instid0(VALU_DEP_4)
	v_fmamk_f32 v7, v7, 0x3f4a47b2, v12
	v_fma_f32 v12, 0x3f3bfb3b, v6, -v12
	v_fma_f32 v15, 0xbf5ff5aa, v15, -v13
	;; [unrolled: 1-line block ×4, first 2 shown]
	v_dual_fmamk_f32 v0, v0, 0xbeae86e6, v13 :: v_dual_sub_f32 v23, v58, v68
	s_delay_alu instid0(VALU_DEP_4) | instskip(NEXT) | instid1(VALU_DEP_4)
	v_dual_add_f32 v12, v12, v4 :: v_dual_fmac_f32 v15, 0xbee1c552, v5
	v_add_f32_e32 v6, v6, v4
	s_delay_alu instid0(VALU_DEP_4)
	v_fmac_f32_e32 v10, 0xbee1c552, v5
	s_wait_loadcnt 0x0
	v_dual_add_f32 v4, v7, v4 :: v_dual_add_f32 v13, v73, v55
	v_dual_add_f32 v7, v12, v15 :: v_dual_fmac_f32 v0, 0xbee1c552, v5
	v_sub_f32_e32 v5, v12, v15
	v_add_f32_e32 v15, v67, v57
	v_add_f32_e32 v24, v65, v61
	;; [unrolled: 1-line block ×3, first 2 shown]
	v_sub_f32_e32 v6, v6, v10
	s_delay_alu instid0(VALU_DEP_4)
	v_dual_sub_f32 v8, v62, v66 :: v_dual_add_f32 v25, v13, v15
	v_sub_f32_e32 v9, v15, v13
	v_sub_f32_e32 v11, v13, v24
	;; [unrolled: 1-line block ×3, first 2 shown]
	v_add_f32_e32 v10, v4, v0
	v_sub_f32_e32 v0, v4, v0
	v_dual_sub_f32 v4, v56, v74 :: v_dual_add_f32 v15, v23, v8
	v_sub_f32_e32 v18, v8, v23
	v_dual_add_f32 v14, v25, v24 :: v_dual_mul_f32 v13, 0x3d64c772, v13
	s_delay_alu instid0(VALU_DEP_1) | instskip(NEXT) | instid1(VALU_DEP_2)
	v_dual_add_f32 v22, v14, v1 :: v_dual_add_nc_u32 v63, 0x400, v126
	v_fmamk_f32 v1, v11, 0x3f4a47b2, v13
	v_fma_f32 v13, 0x3f3bfb3b, v9, -v13
	v_sub_f32_e32 v8, v4, v8
	v_sub_f32_e32 v20, v23, v4
	v_add_f32_e32 v4, v4, v15
	v_mul_f32_e32 v15, 0x3f4a47b2, v11
	v_mul_f32_e32 v11, 0x3f08b237, v18
	v_fmamk_f32 v14, v14, 0xbf955555, v22
                                        ; implicit-def: $vgpr23
	s_delay_alu instid0(VALU_DEP_3) | instskip(NEXT) | instid1(VALU_DEP_3)
	v_fma_f32 v9, 0xbf3bfb3b, v9, -v15
	v_fma_f32 v15, 0xbf5ff5aa, v20, -v11
	s_delay_alu instid0(VALU_DEP_3)
	v_add_f32_e32 v13, v13, v14
	v_fmamk_f32 v11, v8, 0xbeae86e6, v11
	v_add_f32_e32 v1, v1, v14
	v_add_f32_e32 v9, v9, v14
	v_fmac_f32_e32 v15, 0xbee1c552, v4
	v_mul_f32_e32 v18, 0xbf5ff5aa, v20
	s_delay_alu instid0(VALU_DEP_2) | instskip(SKIP_1) | instid1(VALU_DEP_3)
	v_dual_fmac_f32 v11, 0xbee1c552, v4 :: v_dual_sub_f32 v14, v13, v15
	v_add_f32_e32 v13, v13, v15
	v_fma_f32 v8, 0x3eae86e6, v8, -v18
	v_add_nc_u32_e32 v18, 0x5a4, v3
	ds_store_2addr_b32 v3, v17, v21 offset0:242 offset1:243
	v_dual_add_f32 v15, v1, v11 :: v_dual_fmac_f32 v8, 0xbee1c552, v4
	ds_store_2addr_b32 v18, v7, v6 offset1:1
	v_add_nc_u32_e32 v21, 0x200, v3
	v_add_nc_u32_e32 v17, 0x59c, v3
	v_sub_f32_e32 v4, v1, v11
	v_add_f32_e32 v20, v9, v8
	v_sub_f32_e32 v8, v9, v8
	ds_store_2addr_b32 v21, v16, v0 offset0:116 offset1:235
	v_add_nc_u32_e32 v0, 0x774, v3
	v_add_nc_u32_e32 v1, 0x594, v3
	;; [unrolled: 1-line block ×4, first 2 shown]
	ds_store_2addr_b32 v17, v12, v5 offset1:1
	ds_store_2addr_b32 v1, v19, v10 offset1:1
	ds_store_b32 v3, v22 offset:1904
	ds_store_2addr_b32 v0, v15, v20 offset1:1
	ds_store_2addr_b32 v6, v14, v13 offset1:1
	;; [unrolled: 1-line block ×3, first 2 shown]
	global_wb scope:SCOPE_SE
	s_wait_dscnt 0x0
	s_wait_kmcnt 0x0
	s_barrier_signal -1
	s_barrier_wait -1
	global_inv scope:SCOPE_SE
	ds_load_2addr_b32 v[6:7], v126 offset0:17 offset1:35
	ds_load_b32 v136, v109
	ds_load_b32 v137, v126 offset:2308
	ds_load_2addr_b32 v[59:60], v126 offset0:52 offset1:70
	ds_load_2addr_b32 v[53:54], v126 offset0:87 offset1:105
	;; [unrolled: 1-line block ×15, first 2 shown]
                                        ; implicit-def: $vgpr14
                                        ; implicit-def: $vgpr12
                                        ; implicit-def: $vgpr20
                                        ; implicit-def: $vgpr18
                                        ; implicit-def: $vgpr11
                                        ; implicit-def: $vgpr17
	s_and_saveexec_b32 s1, s0
	s_cbranch_execz .LBB0_14
; %bb.13:
	v_add_nc_u32_e32 v0, 0x200, v128
	v_add_nc_u32_e32 v10, 0x400, v128
	;; [unrolled: 1-line block ×3, first 2 shown]
	ds_load_2addr_b32 v[4:5], v128 offset0:34 offset1:69
	ds_load_2addr_b32 v[14:15], v128 offset0:104 offset1:139
	;; [unrolled: 1-line block ×8, first 2 shown]
	ds_load_b32 v138, v128 offset:2376
.LBB0_14:
	s_wait_alu 0xfffe
	s_or_b32 exec_lo, exec_lo, s1
	v_dual_add_f32 v0, v124, v112 :: v_dual_sub_f32 v111, v111, v123
	v_dual_add_f32 v112, v122, v118 :: v_dual_sub_f32 v117, v117, v121
	;; [unrolled: 1-line block ×3, first 2 shown]
	v_add_f32_e32 v98, v106, v98
	s_delay_alu instid0(VALU_DEP_3) | instskip(SKIP_1) | instid1(VALU_DEP_4)
	v_add_f32_e32 v118, v0, v112
	v_sub_f32_e32 v119, v112, v0
	v_sub_f32_e32 v0, v0, v114
	;; [unrolled: 1-line block ×3, first 2 shown]
	v_add_f32_e32 v120, v117, v113
	v_add_f32_e32 v114, v118, v114
	v_sub_f32_e32 v118, v113, v117
	v_sub_f32_e32 v117, v117, v111
	;; [unrolled: 1-line block ×3, first 2 shown]
	v_add_f32_e32 v111, v111, v120
	v_dual_mul_f32 v120, 0x3f4a47b2, v0 :: v_dual_sub_f32 v93, v93, v107
	v_mul_f32_e32 v118, 0x3f08b237, v118
	v_mul_f32_e32 v121, 0xbf5ff5aa, v117
	v_dual_mul_f32 v112, 0x3d64c772, v112 :: v_dual_sub_f32 v97, v97, v105
	v_add_f32_e32 v94, v108, v94
	s_delay_alu instid0(VALU_DEP_4) | instskip(SKIP_1) | instid1(VALU_DEP_4)
	v_fma_f32 v117, 0xbf5ff5aa, v117, -v118
	v_add_f32_e32 v110, v114, v110
	v_dual_fmamk_f32 v0, v0, 0x3f4a47b2, v112 :: v_dual_sub_f32 v101, v101, v115
	v_fma_f32 v112, 0x3f3bfb3b, v119, -v112
	v_fma_f32 v119, 0xbf3bfb3b, v119, -v120
	v_dual_fmamk_f32 v120, v113, 0xbeae86e6, v118 :: v_dual_add_f32 v105, v98, v94
	v_fmac_f32_e32 v117, 0xbee1c552, v111
	v_fmamk_f32 v114, v114, 0xbf955555, v110
	v_add_f32_e32 v102, v116, v102
	v_fma_f32 v113, 0x3eae86e6, v113, -v121
	v_fmac_f32_e32 v120, 0xbee1c552, v111
	v_sub_f32_e32 v106, v94, v98
	v_dual_add_f32 v0, v0, v114 :: v_dual_add_f32 v107, v93, v101
	v_add_f32_e32 v112, v112, v114
	v_sub_f32_e32 v98, v98, v102
	v_sub_f32_e32 v94, v102, v94
	v_add_f32_e32 v102, v105, v102
	v_dual_sub_f32 v105, v101, v93 :: v_dual_add_f32 v114, v119, v114
	v_sub_f32_e32 v101, v97, v101
	v_fmac_f32_e32 v113, 0xbee1c552, v111
	v_sub_f32_e32 v93, v93, v97
	s_delay_alu instid0(VALU_DEP_4) | instskip(SKIP_1) | instid1(VALU_DEP_4)
	v_mul_f32_e32 v105, 0x3f08b237, v105
	v_add_f32_e32 v97, v97, v107
	v_dual_add_f32 v119, v117, v112 :: v_dual_sub_f32 v118, v114, v113
	s_delay_alu instid0(VALU_DEP_4) | instskip(NEXT) | instid1(VALU_DEP_4)
	v_mul_f32_e32 v108, 0xbf5ff5aa, v93
	v_fma_f32 v93, 0xbf5ff5aa, v93, -v105
	v_dual_mul_f32 v94, 0x3d64c772, v94 :: v_dual_sub_f32 v81, v81, v103
	v_dual_add_f32 v96, v102, v96 :: v_dual_sub_f32 v85, v85, v89
	s_delay_alu instid0(VALU_DEP_3) | instskip(SKIP_1) | instid1(VALU_DEP_4)
	v_fmac_f32_e32 v93, 0xbee1c552, v97
	v_dual_sub_f32 v112, v112, v117 :: v_dual_mul_f32 v107, 0x3f4a47b2, v98
	v_dual_fmamk_f32 v98, v98, 0x3f4a47b2, v94 :: v_dual_sub_f32 v87, v87, v99
	v_fma_f32 v94, 0x3f3bfb3b, v106, -v94
	v_add_f32_e32 v70, v92, v70
	s_delay_alu instid0(VALU_DEP_4) | instskip(SKIP_4) | instid1(VALU_DEP_4)
	v_fma_f32 v106, 0xbf3bfb3b, v106, -v107
	v_fmamk_f32 v107, v101, 0xbeae86e6, v105
	v_fma_f32 v101, 0x3eae86e6, v101, -v108
	v_dual_add_f32 v72, v80, v72 :: v_dual_sub_f32 v61, v61, v65
	v_sub_f32_e32 v111, v0, v120
	v_fmac_f32_e32 v107, 0xbee1c552, v97
	s_delay_alu instid0(VALU_DEP_4)
	v_fmac_f32_e32 v101, 0xbee1c552, v97
	v_dual_add_f32 v97, v113, v114 :: v_dual_fmamk_f32 v102, v102, 0xbf955555, v96
	v_add_f32_e32 v105, v120, v0
	v_dual_add_f32 v0, v104, v82 :: v_dual_sub_f32 v69, v69, v91
	v_dual_add_f32 v82, v90, v86 :: v_dual_sub_f32 v71, v71, v79
	v_dual_add_f32 v90, v85, v87 :: v_dual_add_f32 v79, v70, v72
	v_add_f32_e32 v86, v100, v88
	s_delay_alu instid0(VALU_DEP_3) | instskip(SKIP_1) | instid1(VALU_DEP_3)
	v_dual_add_f32 v88, v0, v82 :: v_dual_sub_f32 v89, v82, v0
	v_dual_add_f32 v76, v84, v76 :: v_dual_sub_f32 v75, v75, v83
	v_sub_f32_e32 v0, v0, v86
	v_sub_f32_e32 v82, v86, v82
	s_delay_alu instid0(VALU_DEP_4)
	v_add_f32_e32 v86, v88, v86
	v_sub_f32_e32 v80, v72, v70
	v_sub_f32_e32 v70, v70, v76
	v_dual_sub_f32 v72, v76, v72 :: v_dual_add_f32 v83, v71, v75
	v_mul_f32_e32 v82, 0x3d64c772, v82
	v_add_f32_e32 v76, v79, v76
	v_add_f32_e32 v98, v98, v102
	v_add_f32_e32 v94, v94, v102
	v_dual_sub_f32 v88, v87, v85 :: v_dual_sub_f32 v87, v81, v87
	v_sub_f32_e32 v85, v85, v81
	v_dual_add_f32 v81, v81, v90 :: v_dual_mul_f32 v90, 0x3f4a47b2, v0
	v_dual_sub_f32 v79, v75, v71 :: v_dual_add_f32 v78, v86, v78
	v_sub_f32_e32 v75, v69, v75
	v_dual_sub_f32 v71, v71, v69 :: v_dual_fmamk_f32 v0, v0, 0x3f4a47b2, v82
	v_add_f32_e32 v69, v69, v83
	v_dual_mul_f32 v83, 0x3f4a47b2, v70 :: v_dual_add_f32 v64, v76, v64
	v_mul_f32_e32 v72, 0x3d64c772, v72
	v_dual_mul_f32 v88, 0x3f08b237, v88 :: v_dual_mul_f32 v79, 0x3f08b237, v79
	v_fma_f32 v82, 0x3f3bfb3b, v89, -v82
	s_delay_alu instid0(VALU_DEP_4) | instskip(NEXT) | instid1(VALU_DEP_4)
	v_fmamk_f32 v76, v76, 0xbf955555, v64
	v_fmamk_f32 v70, v70, 0x3f4a47b2, v72
	v_fma_f32 v72, 0x3f3bfb3b, v80, -v72
	v_fma_f32 v80, 0xbf3bfb3b, v80, -v83
	;; [unrolled: 1-line block ×3, first 2 shown]
	s_delay_alu instid0(VALU_DEP_4) | instskip(NEXT) | instid1(VALU_DEP_4)
	v_dual_fmamk_f32 v83, v75, 0xbeae86e6, v79 :: v_dual_add_f32 v70, v70, v76
	v_add_f32_e32 v72, v72, v76
	s_delay_alu instid0(VALU_DEP_4)
	v_add_f32_e32 v76, v80, v76
	v_mul_f32_e32 v84, 0xbf5ff5aa, v71
	v_fma_f32 v71, 0xbf5ff5aa, v71, -v79
	v_add_f32_e32 v113, v93, v94
	v_sub_f32_e32 v93, v94, v93
	v_fmac_f32_e32 v83, 0xbee1c552, v69
	v_fma_f32 v75, 0x3eae86e6, v75, -v84
	v_fmac_f32_e32 v71, 0xbee1c552, v69
	v_fmamk_f32 v86, v86, 0xbf955555, v78
	v_fmamk_f32 v90, v87, 0xbeae86e6, v88
	v_sub_f32_e32 v55, v55, v73
	v_fmac_f32_e32 v75, 0xbee1c552, v69
	s_delay_alu instid0(VALU_DEP_4)
	v_dual_sub_f32 v57, v57, v67 :: v_dual_add_f32 v0, v0, v86
	v_add_f32_e32 v82, v82, v86
	v_add_f32_e32 v86, v89, v86
	v_mul_f32_e32 v94, 0xbf5ff5aa, v85
	v_fma_f32 v85, 0xbf5ff5aa, v85, -v88
	v_add_f32_e32 v88, v107, v98
	v_sub_f32_e32 v80, v70, v83
	v_sub_f32_e32 v84, v76, v75
	v_fma_f32 v87, 0x3eae86e6, v87, -v94
	v_add_f32_e32 v102, v106, v102
	v_dual_sub_f32 v106, v98, v107 :: v_dual_fmac_f32 v85, 0xbee1c552, v81
	global_wb scope:SCOPE_SE
	s_wait_dscnt 0x0
	v_fmac_f32_e32 v87, 0xbee1c552, v81
	v_sub_f32_e32 v108, v102, v101
	s_barrier_signal -1
	v_add_f32_e32 v98, v85, v82
	v_sub_f32_e32 v82, v82, v85
	v_dual_sub_f32 v94, v86, v87 :: v_dual_add_f32 v85, v71, v72
	v_dual_sub_f32 v71, v72, v71 :: v_dual_fmac_f32 v90, 0xbee1c552, v81
	v_add_f32_e32 v81, v101, v102
	v_add_f32_e32 v69, v87, v86
	s_barrier_wait -1
	global_inv scope:SCOPE_SE
	v_sub_f32_e32 v89, v0, v90
	v_add_f32_e32 v79, v90, v0
	v_add_f32_e32 v0, v74, v56
	;; [unrolled: 1-line block ×5, first 2 shown]
                                        ; implicit-def: $vgpr139
                                        ; implicit-def: $vgpr74
	s_delay_alu instid0(VALU_DEP_3) | instskip(SKIP_1) | instid1(VALU_DEP_4)
	v_add_f32_e32 v62, v0, v56
	v_sub_f32_e32 v65, v56, v0
	v_sub_f32_e32 v0, v0, v58
	;; [unrolled: 1-line block ×3, first 2 shown]
	s_delay_alu instid0(VALU_DEP_4)
	v_add_f32_e32 v58, v62, v58
	v_sub_f32_e32 v62, v61, v57
	v_sub_f32_e32 v57, v57, v55
	;; [unrolled: 1-line block ×3, first 2 shown]
	v_add_f32_e32 v55, v55, v66
	v_add_f32_e32 v2, v58, v2
	v_mul_f32_e32 v56, 0x3d64c772, v56
	v_mul_f32_e32 v66, 0x3f4a47b2, v0
	;; [unrolled: 1-line block ×4, first 2 shown]
	v_fmamk_f32 v58, v58, 0xbf955555, v2
	v_fmamk_f32 v0, v0, 0x3f4a47b2, v56
	v_fma_f32 v56, 0x3f3bfb3b, v65, -v56
	v_fma_f32 v65, 0xbf3bfb3b, v65, -v66
	v_fmamk_f32 v66, v61, 0xbeae86e6, v62
	v_fma_f32 v57, 0xbf5ff5aa, v57, -v62
	v_fma_f32 v61, 0x3eae86e6, v61, -v67
	v_add_f32_e32 v0, v0, v58
	v_add_f32_e32 v56, v56, v58
	v_fmac_f32_e32 v66, 0xbee1c552, v55
	v_dual_fmac_f32 v57, 0xbee1c552, v55 :: v_dual_add_f32 v58, v65, v58
	v_fmac_f32_e32 v61, 0xbee1c552, v55
	v_add_f32_e32 v55, v75, v76
	s_delay_alu instid0(VALU_DEP_3) | instskip(SKIP_1) | instid1(VALU_DEP_4)
	v_dual_sub_f32 v65, v0, v66 :: v_dual_add_f32 v68, v57, v56
	v_sub_f32_e32 v56, v56, v57
	v_dual_add_f32 v62, v83, v70 :: v_dual_sub_f32 v67, v58, v61
	v_dual_add_f32 v57, v61, v58 :: v_dual_add_f32 v0, v66, v0
	ds_store_2addr_b32 v3, v110, v111 offset1:1
	ds_store_2addr_b32 v3, v118, v119 offset0:2 offset1:3
	ds_store_2addr_b32 v3, v112, v97 offset0:4 offset1:5
	ds_store_b32 v3, v105 offset:24
	ds_store_2addr_b32 v131, v96, v106 offset1:1
	ds_store_2addr_b32 v131, v108, v113 offset0:2 offset1:3
	ds_store_2addr_b32 v131, v93, v81 offset0:4 offset1:5
	ds_store_b32 v131, v88 offset:24
	;; [unrolled: 4-line block ×4, first 2 shown]
	ds_store_b32 v77, v2
	ds_store_2addr_b32 v77, v65, v67 offset0:1 offset1:2
	ds_store_2addr_b32 v77, v68, v56 offset0:3 offset1:4
	;; [unrolled: 1-line block ×3, first 2 shown]
	global_wb scope:SCOPE_SE
	s_wait_dscnt 0x0
	s_barrier_signal -1
	s_barrier_wait -1
	global_inv scope:SCOPE_SE
	ds_load_2addr_b32 v[2:3], v126 offset0:17 offset1:35
	ds_load_2addr_b32 v[99:100], v126 offset0:52 offset1:70
	;; [unrolled: 1-line block ×16, first 2 shown]
	ds_load_b32 v104, v109
	ds_load_b32 v140, v126 offset:2308
                                        ; implicit-def: $vgpr61
                                        ; implicit-def: $vgpr57
                                        ; implicit-def: $vgpr71
                                        ; implicit-def: $vgpr69
                                        ; implicit-def: $vgpr64
                                        ; implicit-def: $vgpr68
	s_and_saveexec_b32 s1, s0
	s_cbranch_execz .LBB0_16
; %bb.15:
	v_add_nc_u32_e32 v63, 0x200, v128
	v_add_nc_u32_e32 v64, 0x400, v128
	;; [unrolled: 1-line block ×3, first 2 shown]
	ds_load_2addr_b32 v[0:1], v128 offset0:34 offset1:69
	ds_load_2addr_b32 v[61:62], v128 offset0:104 offset1:139
	;; [unrolled: 1-line block ×8, first 2 shown]
	ds_load_b32 v139, v128 offset:2376
.LBB0_16:
	s_wait_alu 0xfffe
	s_or_b32 exec_lo, exec_lo, s1
	v_and_b32_e32 v102, 0xff, v125
	v_add_nc_u32_e32 v101, 17, v125
	s_delay_alu instid0(VALU_DEP_2) | instskip(NEXT) | instid1(VALU_DEP_2)
	v_mul_lo_u16 v102, v102, 37
	v_and_b32_e32 v103, 0xff, v101
	s_delay_alu instid0(VALU_DEP_2) | instskip(NEXT) | instid1(VALU_DEP_2)
	v_lshrrev_b16 v102, 8, v102
	v_mul_lo_u16 v103, v103, 37
	s_delay_alu instid0(VALU_DEP_2) | instskip(NEXT) | instid1(VALU_DEP_2)
	v_sub_nc_u16 v105, v125, v102
	v_lshrrev_b16 v103, 8, v103
	s_delay_alu instid0(VALU_DEP_2) | instskip(NEXT) | instid1(VALU_DEP_2)
	v_lshrrev_b16 v105, 1, v105
	v_sub_nc_u16 v106, v101, v103
	s_delay_alu instid0(VALU_DEP_2) | instskip(NEXT) | instid1(VALU_DEP_2)
	v_and_b32_e32 v105, 0x7f, v105
	v_lshrrev_b16 v106, 1, v106
	s_delay_alu instid0(VALU_DEP_2) | instskip(NEXT) | instid1(VALU_DEP_2)
	v_add_nc_u16 v102, v105, v102
	v_and_b32_e32 v105, 0x7f, v106
	s_delay_alu instid0(VALU_DEP_2) | instskip(NEXT) | instid1(VALU_DEP_2)
	v_lshrrev_b16 v134, 2, v102
	v_add_nc_u16 v102, v105, v103
	s_delay_alu instid0(VALU_DEP_2) | instskip(NEXT) | instid1(VALU_DEP_2)
	v_mul_lo_u16 v103, v134, 7
	v_lshrrev_b16 v131, 2, v102
	s_delay_alu instid0(VALU_DEP_2) | instskip(NEXT) | instid1(VALU_DEP_2)
	v_sub_nc_u16 v102, v125, v103
	v_mul_lo_u16 v103, v131, 7
	v_and_b32_e32 v131, 0xffff, v131
	s_delay_alu instid0(VALU_DEP_3) | instskip(NEXT) | instid1(VALU_DEP_3)
	v_and_b32_e32 v135, 0xff, v102
	v_sub_nc_u16 v102, v101, v103
	s_delay_alu instid0(VALU_DEP_3) | instskip(NEXT) | instid1(VALU_DEP_3)
	v_mad_u32_u24 v131, 0x1dc, v131, 0
	v_lshlrev_b32_e32 v103, 7, v135
	s_delay_alu instid0(VALU_DEP_3)
	v_and_b32_e32 v132, 0xff, v102
	global_load_b128 v[105:108], v103, s[8:9]
	v_lshlrev_b32_e32 v110, 7, v132
	s_clause 0x4
	global_load_b128 v[141:144], v110, s[8:9]
	global_load_b128 v[145:148], v103, s[8:9] offset:16
	global_load_b128 v[149:152], v110, s[8:9] offset:16
	;; [unrolled: 1-line block ×4, first 2 shown]
	v_add_nc_u32_e32 v102, 34, v125
	global_load_b128 v[181:184], v110, s[8:9] offset:48
	v_and_b32_e32 v111, 0xff, v102
	s_delay_alu instid0(VALU_DEP_1) | instskip(NEXT) | instid1(VALU_DEP_1)
	v_mul_lo_u16 v111, v111, 37
	v_lshrrev_b16 v111, 8, v111
	s_delay_alu instid0(VALU_DEP_1) | instskip(NEXT) | instid1(VALU_DEP_1)
	v_sub_nc_u16 v112, v102, v111
	v_lshrrev_b16 v112, 1, v112
	s_delay_alu instid0(VALU_DEP_1) | instskip(NEXT) | instid1(VALU_DEP_1)
	v_and_b32_e32 v112, 0x7f, v112
	v_add_nc_u16 v111, v112, v111
	s_delay_alu instid0(VALU_DEP_1) | instskip(NEXT) | instid1(VALU_DEP_1)
	v_lshrrev_b16 v111, 2, v111
	v_mul_lo_u16 v111, v111, 7
	s_wait_loadcnt_dscnt 0x611
	v_mul_f32_e32 v120, v3, v106
	s_wait_dscnt 0x10
	v_mul_f32_e32 v116, v100, v108
	s_wait_loadcnt_dscnt 0x40f
	v_mul_f32_e32 v112, v98, v146
	s_clause 0x4
	global_load_b128 v[161:164], v103, s[8:9] offset:48
	global_load_b128 v[165:168], v103, s[8:9] offset:64
	global_load_b128 v[169:172], v103, s[8:9] offset:80
	global_load_b128 v[173:176], v103, s[8:9] offset:96
	global_load_b128 v[177:180], v103, s[8:9] offset:112
	v_sub_nc_u16 v103, v102, v111
	v_fmac_f32_e32 v120, v7, v105
	v_fmac_f32_e32 v116, v60, v107
	s_delay_alu instid0(VALU_DEP_3) | instskip(SKIP_2) | instid1(VALU_DEP_2)
	v_dual_fmac_f32 v112, v54, v145 :: v_dual_and_b32 v133, 0xff, v103
	v_mul_f32_e32 v103, v7, v106
	v_dual_mul_f32 v7, v59, v142 :: v_dual_mul_f32 v106, v60, v108
	v_fma_f32 v121, v3, v105, -v103
	v_mul_f32_e32 v103, v99, v142
	s_delay_alu instid0(VALU_DEP_3)
	v_fma_f32 v99, v99, v141, -v7
	v_mul_f32_e32 v7, v52, v148
	v_fma_f32 v118, v100, v107, -v106
	v_mul_f32_e32 v100, v97, v144
	v_lshlrev_b32_e32 v114, 7, v133
	v_fmac_f32_e32 v103, v59, v141
	v_mul_f32_e32 v59, v53, v144
	s_wait_dscnt 0xe
	v_dual_mul_f32 v3, v54, v146 :: v_dual_mul_f32 v106, v96, v148
	v_fma_f32 v111, v96, v147, -v7
	s_wait_loadcnt_dscnt 0x70c
	v_dual_mul_f32 v7, v51, v150 :: v_dual_mul_f32 v96, v92, v156
	v_fmac_f32_e32 v100, v53, v143
	v_fma_f32 v97, v97, v143, -v59
	v_mul_f32_e32 v59, v95, v150
	v_fma_f32 v113, v98, v145, -v3
	v_dual_fmac_f32 v106, v52, v147 :: v_dual_mul_f32 v3, v50, v154
	s_delay_alu instid0(VALU_DEP_3) | instskip(SKIP_2) | instid1(VALU_DEP_3)
	v_dual_mul_f32 v98, v94, v154 :: v_dual_fmac_f32 v59, v51, v149
	v_fma_f32 v60, v95, v149, -v7
	v_mul_f32_e32 v7, v48, v156
	v_dual_mul_f32 v51, v93, v152 :: v_dual_fmac_f32 v98, v50, v153
	v_mul_f32_e32 v52, v49, v152
	s_clause 0x3
	global_load_b128 v[185:188], v110, s[8:9] offset:64
	global_load_b128 v[189:192], v110, s[8:9] offset:80
	;; [unrolled: 1-line block ×4, first 2 shown]
	v_fma_f32 v105, v94, v153, -v3
	s_wait_loadcnt 0xa
	v_dual_mul_f32 v3, v47, v158 :: v_dual_fmac_f32 v96, v48, v155
	v_mul_f32_e32 v50, v91, v158
	v_fma_f32 v107, v92, v155, -v7
	v_mul_f32_e32 v7, v45, v160
	s_wait_dscnt 0xb
	v_mul_f32_e32 v48, v89, v160
	s_clause 0x3
	global_load_b128 v[201:204], v114, s[8:9]
	global_load_b128 v[205:208], v114, s[8:9] offset:16
	global_load_b128 v[141:144], v114, s[8:9] offset:32
	;; [unrolled: 1-line block ×3, first 2 shown]
	v_dual_fmac_f32 v51, v49, v151 :: v_dual_fmac_f32 v50, v47, v157
	v_fma_f32 v49, v93, v151, -v52
	s_clause 0x1
	global_load_b128 v[145:148], v114, s[8:9] offset:64
	global_load_b128 v[149:152], v114, s[8:9] offset:80
	v_fma_f32 v54, v91, v157, -v3
	global_load_b128 v[153:156], v114, s[8:9] offset:96
	s_wait_loadcnt 0xf
	v_dual_mul_f32 v3, v46, v162 :: v_dual_lshlrev_b32 v132, 2, v132
	v_fmac_f32_e32 v48, v45, v159
	v_fma_f32 v45, v89, v159, -v7
	s_wait_dscnt 0xa
	v_mul_f32_e32 v89, v88, v164
	global_load_b128 v[157:160], v114, s[8:9] offset:112
	v_dual_mul_f32 v92, v90, v162 :: v_dual_mul_f32 v7, v44, v164
	v_fma_f32 v93, v90, v161, -v3
	s_wait_loadcnt_dscnt 0xf09
	v_mul_f32_e32 v90, v86, v166
	s_wait_dscnt 0x8
	v_dual_mul_f32 v3, v42, v166 :: v_dual_mul_f32 v94, v84, v168
	v_fma_f32 v88, v88, v163, -v7
	s_wait_loadcnt_dscnt 0xe07
	v_dual_mul_f32 v7, v40, v168 :: v_dual_mul_f32 v108, v82, v170
	v_fmac_f32_e32 v90, v42, v165
	v_fma_f32 v91, v86, v165, -v3
	v_mul_f32_e32 v3, v31, v172
	s_delay_alu instid0(VALU_DEP_4)
	v_fma_f32 v95, v84, v167, -v7
	s_wait_loadcnt 0xd
	v_dual_mul_f32 v7, v29, v174 :: v_dual_fmac_f32 v92, v46, v161
	v_dual_fmac_f32 v89, v44, v163 :: v_dual_mul_f32 v44, v38, v170
	s_wait_loadcnt_dscnt 0xc03
	v_dual_mul_f32 v114, v80, v172 :: v_dual_mul_f32 v129, v66, v178
	v_fma_f32 v115, v80, v171, -v3
	v_mul_f32_e32 v122, v76, v176
	v_mul_f32_e32 v3, v27, v176
	v_fma_f32 v119, v78, v173, -v7
	v_dual_mul_f32 v7, v43, v182 :: v_dual_fmac_f32 v94, v40, v167
	v_mul_f32_e32 v117, v78, v174
	v_fmac_f32_e32 v108, v38, v169
	v_fma_f32 v110, v82, v169, -v44
	v_dual_fmac_f32 v114, v31, v171 :: v_dual_mul_f32 v31, v25, v178
	s_delay_alu instid0(VALU_DEP_4)
	v_dual_fmac_f32 v117, v29, v173 :: v_dual_fmac_f32 v122, v27, v175
	v_fma_f32 v123, v76, v175, -v3
	v_mul_f32_e32 v3, v9, v180
	s_wait_dscnt 0x2
	v_dual_mul_f32 v130, v56, v180 :: v_dual_fmac_f32 v129, v25, v177
	v_mul_f32_e32 v42, v87, v182
	s_wait_loadcnt 0xa
	v_dual_mul_f32 v38, v85, v184 :: v_dual_mul_f32 v47, v79, v190
	v_fma_f32 v44, v87, v181, -v7
	v_mul_f32_e32 v7, v30, v190
	v_fma_f32 v128, v66, v177, -v31
	s_delay_alu instid0(VALU_DEP_4)
	v_fmac_f32_e32 v38, v41, v183
	v_dual_fmac_f32 v130, v9, v179 :: v_dual_mul_f32 v9, v39, v186
	v_fma_f32 v124, v56, v179, -v3
	v_dual_mul_f32 v3, v41, v184 :: v_dual_mul_f32 v40, v83, v186
	v_dual_fmac_f32 v42, v43, v181 :: v_dual_mul_f32 v25, v37, v188
	s_wait_loadcnt 0x9
	v_dual_mul_f32 v66, v77, v192 :: v_dual_mul_f32 v53, v26, v194
	v_mul_f32_e32 v52, v28, v192
	s_wait_loadcnt 0x8
	v_dual_mul_f32 v82, v75, v194 :: v_dual_mul_f32 v161, v137, v200
	s_wait_loadcnt 0x5
	v_dual_mul_f32 v76, v61, v204 :: v_dual_mul_f32 v29, v58, v142
	v_dual_mul_f32 v142, v13, v142 :: v_dual_mul_f32 v27, v71, v144
	v_mul_f32_e32 v144, v20, v144
	v_fma_f32 v56, v79, v189, -v7
	s_wait_loadcnt 0x3
	v_mul_f32_e32 v7, v70, v146
	v_mul_f32_e32 v43, v81, v188
	v_fma_f32 v41, v85, v183, -v3
	v_mul_f32_e32 v85, v55, v198
	v_dual_fmac_f32 v40, v39, v185 :: v_dual_mul_f32 v163, v14, v204
	v_fma_f32 v39, v83, v185, -v9
	v_fma_f32 v46, v81, v187, -v25
	v_dual_fmac_f32 v66, v28, v191 :: v_dual_mul_f32 v3, v69, v212
	v_fma_f32 v81, v77, v191, -v52
	v_dual_mul_f32 v146, v19, v146 :: v_dual_mul_f32 v25, v73, v148
	s_wait_loadcnt 0x2
	v_mul_f32_e32 v28, v74, v150
	v_fmac_f32_e32 v82, v26, v193
	v_fma_f32 v83, v75, v193, -v53
	s_wait_loadcnt_dscnt 0x101
	v_dual_mul_f32 v52, v63, v156 :: v_dual_fmac_f32 v3, v18, v211
	v_dual_mul_f32 v156, v10, v156 :: v_dual_fmac_f32 v7, v19, v145
	v_dual_fmac_f32 v76, v14, v203 :: v_dual_sub_f32 v19, v121, v124
	v_dual_mul_f32 v84, v65, v196 :: v_dual_mul_f32 v87, v8, v198
	v_dual_mul_f32 v80, v24, v196 :: v_dual_fmac_f32 v43, v37, v187
	s_wait_dscnt 0x0
	v_dual_mul_f32 v86, v140, v200 :: v_dual_mul_f32 v37, v62, v206
	v_dual_mul_f32 v78, v1, v202 :: v_dual_mul_f32 v165, v12, v208
	v_dual_mul_f32 v162, v5, v202 :: v_dual_fmac_f32 v47, v30, v189
	v_dual_mul_f32 v164, v15, v206 :: v_dual_mul_f32 v31, v57, v208
	v_dual_mul_f32 v9, v72, v210 :: v_dual_mul_f32 v148, v22, v148
	;; [unrolled: 1-line block ×3, first 2 shown]
	v_dual_mul_f32 v150, v23, v150 :: v_dual_fmac_f32 v85, v8, v197
	s_delay_alu instid0(VALU_DEP_4)
	v_dual_mul_f32 v26, v67, v152 :: v_dual_fmac_f32 v31, v12, v207
	v_dual_mul_f32 v152, v16, v152 :: v_dual_fmac_f32 v37, v15, v205
	;; [unrolled: 1-line block ×4, first 2 shown]
	v_fma_f32 v13, v71, v143, -v144
	v_dual_fmac_f32 v25, v22, v147 :: v_dual_add_f32 v20, v120, v130
	v_dual_sub_f32 v22, v118, v128 :: v_dual_mul_f32 v71, 0xbf763a35, v19
	v_dual_fmac_f32 v84, v24, v195 :: v_dual_fmac_f32 v9, v21, v209
	v_fma_f32 v65, v65, v195, -v80
	v_fma_f32 v80, v1, v201, -v162
	v_fma_f32 v53, v62, v205, -v164
	v_fma_f32 v24, v57, v207, -v165
	v_fma_f32 v15, v58, v141, -v142
	v_fma_f32 v1, v69, v211, -v167
	v_fmac_f32_e32 v26, v16, v151
	v_fma_f32 v16, v67, v151, -v152
	v_dual_fmac_f32 v30, v17, v153 :: v_dual_add_f32 v57, v112, v122
	v_dual_add_f32 v62, v136, v120 :: v_dual_mul_f32 v69, 0xbf65296c, v19
	v_mul_f32_e32 v67, 0xbeb8f4ab, v19
	v_fmac_f32_e32 v52, v10, v155
	v_fma_f32 v10, v63, v155, -v156
	v_sub_f32_e32 v63, v105, v115
	v_dual_fmac_f32 v86, v137, v199 :: v_dual_add_f32 v21, v116, v129
	v_fma_f32 v77, v61, v203, -v163
	v_fmamk_f32 v163, v20, 0x3f6eb680, v67
	v_fma_f32 v67, 0x3f6eb680, v20, -v67
	v_fma_f32 v55, v55, v197, -v87
	;; [unrolled: 1-line block ×5, first 2 shown]
	v_sub_f32_e32 v58, v111, v119
	v_dual_mul_f32 v73, 0xbf06c442, v19 :: v_dual_add_f32 v62, v62, v116
	v_mul_f32_e32 v137, 0xbf7ee86f, v22
	v_add_f32_e32 v67, v136, v67
	v_fma_f32 v14, v74, v149, -v150
	v_fma_f32 v17, v68, v153, -v154
	s_delay_alu instid0(VALU_DEP_4)
	v_dual_add_f32 v62, v62, v112 :: v_dual_fmamk_f32 v171, v21, 0x3dbcf732, v137
	v_add_f32_e32 v61, v106, v117
	v_fma_f32 v137, 0x3dbcf732, v21, -v137
	global_wb scope:SCOPE_SE
	s_wait_loadcnt 0x0
	v_add_f32_e32 v62, v62, v106
	s_barrier_signal -1
	s_barrier_wait -1
	global_inv scope:SCOPE_SE
	v_add_f32_e32 v62, v62, v98
	v_dual_mul_f32 v162, 0x3f7ee86f, v63 :: v_dual_mul_f32 v75, v64, v158
	v_mul_f32_e32 v158, v11, v158
	v_mul_f32_e32 v79, v139, v160
	;; [unrolled: 1-line block ×3, first 2 shown]
	v_dual_fmac_f32 v28, v23, v149 :: v_dual_sub_f32 v23, v113, v123
	v_fmac_f32_e32 v75, v11, v157
	v_fma_f32 v11, v64, v157, -v158
	v_add_f32_e32 v64, v98, v114
	v_dual_fmac_f32 v78, v5, v201 :: v_dual_fmac_f32 v79, v138, v159
	v_fma_f32 v5, v70, v145, -v146
	v_dual_mul_f32 v141, 0x3f763a35, v22 :: v_dual_mul_f32 v146, 0x3f763a35, v23
	v_fmamk_f32 v167, v20, 0xbe8c1d8e, v71
	v_fma_f32 v71, 0xbe8c1d8e, v20, -v71
	v_mul_f32_e32 v138, 0xbf4c4adb, v22
	v_mul_f32_e32 v142, 0x3f65296c, v22
	v_fma_f32 v18, v139, v159, -v160
	v_mul_f32_e32 v139, 0xbe3c28d5, v22
	v_add_f32_e32 v71, v136, v71
	s_delay_alu instid0(VALU_DEP_4)
	v_dual_fmamk_f32 v165, v20, 0x3ee437d1, v69 :: v_dual_fmamk_f32 v176, v21, 0x3ee437d1, v142
	v_fma_f32 v69, 0x3ee437d1, v20, -v69
	v_mul_f32_e32 v70, 0xbf7ee86f, v19
	v_fmamk_f32 v172, v21, 0xbf1a4643, v138
	v_fma_f32 v138, 0xbf1a4643, v21, -v138
	v_fmamk_f32 v180, v57, 0xbe8c1d8e, v146
	v_dual_mul_f32 v140, 0x3f06c442, v22 :: v_dual_add_f32 v167, v136, v167
	v_dual_add_f32 v69, v136, v69 :: v_dual_mul_f32 v148, 0xbeb8f4ab, v23
	v_fmamk_f32 v166, v20, 0x3dbcf732, v70
	v_fma_f32 v70, 0x3dbcf732, v20, -v70
	v_dual_mul_f32 v68, 0xbf2c7751, v19 :: v_dual_add_f32 v165, v136, v165
	v_mul_f32_e32 v159, 0x3f2c7751, v63
	v_dual_fmamk_f32 v169, v20, 0xbf59a7d5, v73 :: v_dual_fmamk_f32 v174, v21, 0xbf59a7d5, v140
	v_mul_f32_e32 v72, 0xbf4c4adb, v19
	v_mul_f32_e32 v19, 0xbe3c28d5, v19
	v_fma_f32 v73, 0xbf59a7d5, v20, -v73
	v_fmamk_f32 v173, v21, 0xbf7ba420, v139
	v_fma_f32 v139, 0xbf7ba420, v21, -v139
	v_dual_add_f32 v70, v136, v70 :: v_dual_add_f32 v69, v138, v69
	v_fmamk_f32 v182, v57, 0x3f6eb680, v148
	v_dual_mul_f32 v74, 0xbf2c7751, v22 :: v_dual_add_f32 v163, v136, v163
	v_dual_mul_f32 v22, 0x3eb8f4ab, v22 :: v_dual_add_f32 v73, v136, v73
	v_fmamk_f32 v170, v20, 0xbf7ba420, v19
	v_fma_f32 v19, 0xbf7ba420, v20, -v19
	v_fmamk_f32 v175, v21, 0xbe8c1d8e, v141
	s_delay_alu instid0(VALU_DEP_4)
	v_dual_fmamk_f32 v177, v21, 0x3f6eb680, v22 :: v_dual_add_f32 v70, v139, v70
	v_add_f32_e32 v169, v136, v169
	v_dual_fmamk_f32 v168, v20, 0xbf1a4643, v72 :: v_dual_add_f32 v139, v174, v167
	v_mul_f32_e32 v151, 0xbe3c28d5, v58
	v_mul_f32_e32 v147, 0x3f2c7751, v23
	v_dual_mul_f32 v152, 0x3f763a35, v58 :: v_dual_add_f32 v19, v136, v19
	v_fmamk_f32 v164, v20, 0x3f3d2fb0, v68
	v_fma_f32 v68, 0x3f3d2fb0, v20, -v68
	v_fma_f32 v72, 0xbf1a4643, v20, -v72
	;; [unrolled: 1-line block ×3, first 2 shown]
	v_fmamk_f32 v20, v21, 0x3f3d2fb0, v74
	v_fma_f32 v74, 0x3f3d2fb0, v21, -v74
	v_fma_f32 v141, 0xbe8c1d8e, v21, -v141
	;; [unrolled: 1-line block ×3, first 2 shown]
	v_add_f32_e32 v71, v140, v71
	v_fma_f32 v21, 0x3f6eb680, v21, -v22
	v_dual_add_f32 v168, v136, v168 :: v_dual_fmamk_f32 v185, v61, 0xbf7ba420, v151
	v_dual_mul_f32 v157, 0xbf763a35, v63 :: v_dual_add_f32 v166, v136, v166
	s_delay_alu instid0(VALU_DEP_3)
	v_add_f32_e32 v19, v21, v19
	v_add_f32_e32 v21, v62, v96
	v_dual_mul_f32 v143, 0xbf65296c, v23 :: v_dual_mul_f32 v154, 0xbf65296c, v58
	v_dual_mul_f32 v144, 0xbf4c4adb, v23 :: v_dual_add_f32 v165, v172, v165
	v_dual_mul_f32 v149, 0xbf7ee86f, v23 :: v_dual_mul_f32 v150, 0xbf7ee86f, v58
	v_dual_mul_f32 v153, 0x3eb8f4ab, v58 :: v_dual_add_f32 v72, v136, v72
	v_dual_mul_f32 v155, 0xbf06c442, v58 :: v_dual_add_f32 v20, v20, v163
	;; [unrolled: 1-line block ×3, first 2 shown]
	v_mul_f32_e32 v58, 0x3f2c7751, v58
	v_dual_mul_f32 v161, 0xbe3c28d5, v63 :: v_dual_add_f32 v170, v136, v170
	v_fma_f32 v146, 0xbe8c1d8e, v57, -v146
	v_fmamk_f32 v181, v57, 0x3f3d2fb0, v147
	v_dual_mul_f32 v145, 0x3e3c28d5, v23 :: v_dual_add_f32 v164, v136, v164
	v_dual_mul_f32 v23, 0xbf06c442, v23 :: v_dual_add_f32 v68, v136, v68
	v_dual_fmamk_f32 v136, v64, 0xbe8c1d8e, v157 :: v_dual_add_f32 v21, v21, v92
	s_delay_alu instid0(VALU_DEP_3) | instskip(SKIP_1) | instid1(VALU_DEP_3)
	v_dual_fmamk_f32 v179, v57, 0xbf7ba420, v145 :: v_dual_add_f32 v140, v175, v168
	v_fma_f32 v145, 0xbf7ba420, v57, -v145
	v_dual_add_f32 v70, v146, v70 :: v_dual_add_f32 v21, v21, v89
	v_mul_f32_e32 v158, 0x3f06c442, v63
	v_dual_mul_f32 v160, 0xbf65296c, v63 :: v_dual_add_f32 v73, v142, v73
	v_fmamk_f32 v22, v57, 0x3ee437d1, v143
	v_fma_f32 v143, 0x3ee437d1, v57, -v143
	v_fma_f32 v147, 0x3f3d2fb0, v57, -v147
	v_fmamk_f32 v178, v57, 0xbf1a4643, v144
	v_fma_f32 v144, 0xbf1a4643, v57, -v144
	v_dual_fmamk_f32 v183, v57, 0x3dbcf732, v149 :: v_dual_fmamk_f32 v172, v64, 0x3dbcf732, v162
	v_add_f32_e32 v164, v171, v164
	v_dual_add_f32 v68, v137, v68 :: v_dual_fmamk_f32 v137, v64, 0xbf7ba420, v161
	v_add_f32_e32 v69, v145, v69
	v_dual_add_f32 v72, v141, v72 :: v_dual_add_f32 v141, v176, v169
	v_dual_add_f32 v140, v182, v140 :: v_dual_add_f32 v21, v21, v90
	v_fma_f32 v148, 0x3f6eb680, v57, -v148
	v_fma_f32 v149, 0x3dbcf732, v57, -v149
	v_dual_fmamk_f32 v184, v57, 0xbf59a7d5, v23 :: v_dual_fmamk_f32 v163, v64, 0xbf59a7d5, v158
	v_fma_f32 v23, 0xbf59a7d5, v57, -v23
	v_dual_fmamk_f32 v186, v61, 0xbe8c1d8e, v152 :: v_dual_add_f32 v141, v183, v141
	v_fmamk_f32 v187, v61, 0x3f6eb680, v153
	s_delay_alu instid0(VALU_DEP_3)
	v_dual_fmamk_f32 v188, v61, 0x3ee437d1, v154 :: v_dual_add_f32 v19, v23, v19
	v_fma_f32 v154, 0x3ee437d1, v61, -v154
	v_fmamk_f32 v171, v64, 0x3ee437d1, v160
	v_dual_fmamk_f32 v57, v61, 0x3dbcf732, v150 :: v_dual_add_f32 v20, v22, v20
	v_dual_add_f32 v22, v143, v67 :: v_dual_add_f32 v67, v144, v68
	v_dual_add_f32 v68, v179, v165 :: v_dual_add_f32 v139, v181, v139
	v_add_f32_e32 v71, v147, v71
	v_dual_fmamk_f32 v189, v61, 0xbf59a7d5, v155 :: v_dual_add_f32 v62, v178, v164
	v_add_f32_e32 v142, v177, v170
	v_add_f32_e32 v21, v21, v94
	v_fma_f32 v150, 0x3dbcf732, v61, -v150
	v_fma_f32 v151, 0xbf7ba420, v61, -v151
	;; [unrolled: 1-line block ×5, first 2 shown]
	v_fmamk_f32 v190, v61, 0xbf1a4643, v156
	v_fma_f32 v156, 0xbf1a4643, v61, -v156
	v_dual_fmamk_f32 v191, v61, 0x3f3d2fb0, v58 :: v_dual_fmamk_f32 v74, v64, 0x3f3d2fb0, v159
	v_fma_f32 v58, 0x3f3d2fb0, v61, -v58
	v_dual_mul_f32 v61, 0xbeb8f4ab, v63 :: v_dual_add_f32 v138, v173, v166
	v_dual_add_f32 v23, v185, v62 :: v_dual_add_f32 v62, v186, v68
	v_add_f32_e32 v21, v21, v108
	v_dual_add_f32 v71, v154, v71 :: v_dual_add_f32 v142, v184, v142
	s_delay_alu instid0(VALU_DEP_4) | instskip(SKIP_1) | instid1(VALU_DEP_4)
	v_add_f32_e32 v138, v180, v138
	v_dual_add_f32 v20, v57, v20 :: v_dual_add_f32 v57, v151, v67
	v_add_f32_e32 v21, v21, v114
	v_add_f32_e32 v22, v150, v22
	s_delay_alu instid0(VALU_DEP_4)
	v_add_f32_e32 v68, v187, v138
	v_dual_add_f32 v138, v188, v139 :: v_dual_add_f32 v139, v189, v140
	v_add_f32_e32 v140, v190, v141
	v_add_f32_e32 v21, v21, v117
	v_fma_f32 v159, 0x3f3d2fb0, v64, -v159
	v_add_f32_e32 v67, v152, v69
	v_fma_f32 v157, 0xbe8c1d8e, v64, -v157
	v_fma_f32 v158, 0xbf59a7d5, v64, -v158
	v_add_f32_e32 v21, v21, v122
	v_fma_f32 v160, 0x3ee437d1, v64, -v160
	v_dual_add_f32 v72, v148, v72 :: v_dual_add_f32 v73, v149, v73
	v_add_f32_e32 v69, v153, v70
	v_dual_add_f32 v19, v58, v19 :: v_dual_add_f32 v22, v157, v22
	v_dual_add_f32 v23, v163, v23 :: v_dual_add_f32 v58, v74, v62
	;; [unrolled: 1-line block ×3, first 2 shown]
	v_add_f32_e32 v74, v172, v139
	v_fma_f32 v161, 0xbf7ba420, v64, -v161
	v_dual_add_f32 v72, v155, v72 :: v_dual_add_f32 v73, v156, v73
	v_dual_add_f32 v141, v191, v142 :: v_dual_add_f32 v20, v136, v20
	;; [unrolled: 1-line block ×4, first 2 shown]
	v_dual_add_f32 v21, v137, v138 :: v_dual_fmamk_f32 v136, v64, 0x3f6eb680, v61
	v_fma_f32 v69, 0x3dbcf732, v64, -v162
	v_fma_f32 v61, 0x3f6eb680, v64, -v61
	v_add_f32_e32 v71, v161, v71
	s_delay_alu instid0(VALU_DEP_4) | instskip(NEXT) | instid1(VALU_DEP_3)
	v_dual_mul_f32 v63, 0xbf4c4adb, v63 :: v_dual_add_f32 v136, v136, v140
	v_dual_add_f32 v138, v96, v108 :: v_dual_add_f32 v61, v61, v73
	v_dual_add_f32 v69, v69, v72 :: v_dual_sub_f32 v72, v107, v110
	s_delay_alu instid0(VALU_DEP_3) | instskip(SKIP_2) | instid1(VALU_DEP_3)
	v_fmamk_f32 v137, v64, 0xbf1a4643, v63
	v_fma_f32 v63, 0xbf1a4643, v64, -v63
	v_dual_add_f32 v146, v100, v85 :: v_dual_lshlrev_b32 v135, 2, v135
	v_dual_mul_f32 v139, 0xbf4c4adb, v72 :: v_dual_add_f32 v64, v137, v141
	s_delay_alu instid0(VALU_DEP_1) | instskip(NEXT) | instid1(VALU_DEP_4)
	v_fmamk_f32 v137, v138, 0xbf1a4643, v139
	v_add_f32_e32 v19, v63, v19
	v_mul_f32_e32 v63, 0xbeb8f4ab, v72
	v_fma_f32 v139, 0xbf1a4643, v138, -v139
	s_delay_alu instid0(VALU_DEP_2) | instskip(NEXT) | instid1(VALU_DEP_2)
	v_dual_add_f32 v20, v137, v20 :: v_dual_fmamk_f32 v137, v138, 0x3f6eb680, v63
	v_dual_mul_f32 v73, 0x3f763a35, v72 :: v_dual_add_f32 v22, v139, v22
	v_mul_f32_e32 v139, 0xbf06c442, v72
	v_fma_f32 v63, 0x3f6eb680, v138, -v63
	s_delay_alu instid0(VALU_DEP_4) | instskip(NEXT) | instid1(VALU_DEP_4)
	v_add_f32_e32 v58, v137, v58
	v_fmamk_f32 v140, v138, 0xbe8c1d8e, v73
	v_fma_f32 v73, 0xbe8c1d8e, v138, -v73
	s_delay_alu instid0(VALU_DEP_1) | instskip(SKIP_1) | instid1(VALU_DEP_1)
	v_dual_add_f32 v62, v63, v62 :: v_dual_add_f32 v57, v73, v57
	v_mul_f32_e32 v73, 0x3f7ee86f, v72
	v_dual_add_f32 v23, v140, v23 :: v_dual_fmamk_f32 v140, v138, 0x3dbcf732, v73
	v_fma_f32 v73, 0x3dbcf732, v138, -v73
	s_delay_alu instid0(VALU_DEP_2)
	v_add_f32_e32 v21, v140, v21
	v_dual_add_f32 v140, v92, v94 :: v_dual_fmamk_f32 v137, v138, 0xbf59a7d5, v139
	v_fma_f32 v63, 0xbf59a7d5, v138, -v139
	v_mul_f32_e32 v139, 0xbf2c7751, v72
	v_add_f32_e32 v71, v73, v71
	v_mul_f32_e32 v73, 0xbe3c28d5, v72
	v_dual_add_f32 v67, v137, v67 :: v_dual_mul_f32 v72, 0x3f65296c, v72
	s_delay_alu instid0(VALU_DEP_4) | instskip(SKIP_1) | instid1(VALU_DEP_2)
	v_dual_add_f32 v63, v63, v68 :: v_dual_fmamk_f32 v68, v138, 0x3f3d2fb0, v139
	v_fma_f32 v137, 0x3f3d2fb0, v138, -v139
	v_add_f32_e32 v68, v68, v74
	s_delay_alu instid0(VALU_DEP_4) | instskip(SKIP_1) | instid1(VALU_DEP_4)
	v_dual_sub_f32 v74, v93, v95 :: v_dual_fmamk_f32 v139, v138, 0x3ee437d1, v72
	v_fma_f32 v72, 0x3ee437d1, v138, -v72
	v_add_f32_e32 v69, v137, v69
	v_fmamk_f32 v137, v138, 0xbf7ba420, v73
	s_delay_alu instid0(VALU_DEP_4) | instskip(SKIP_3) | instid1(VALU_DEP_4)
	v_mul_f32_e32 v141, 0xbf06c442, v74
	v_fma_f32 v73, 0xbf7ba420, v138, -v73
	v_dual_add_f32 v19, v72, v19 :: v_dual_mul_f32 v72, 0xbf7ee86f, v74
	v_add_f32_e32 v64, v139, v64
	v_fma_f32 v138, 0xbf59a7d5, v140, -v141
	v_mul_f32_e32 v139, 0x3f4c4adb, v74
	s_delay_alu instid0(VALU_DEP_2) | instskip(SKIP_2) | instid1(VALU_DEP_2)
	v_add_f32_e32 v22, v138, v22
	v_fmamk_f32 v138, v140, 0x3dbcf732, v72
	v_fma_f32 v72, 0x3dbcf732, v140, -v72
	v_add_f32_e32 v58, v138, v58
	s_delay_alu instid0(VALU_DEP_2) | instskip(SKIP_2) | instid1(VALU_DEP_2)
	v_add_f32_e32 v62, v72, v62
	v_fma_f32 v72, 0xbf1a4643, v140, -v139
	v_dual_mul_f32 v138, 0xbe3c28d5, v74 :: v_dual_add_f32 v61, v73, v61
	v_add_f32_e32 v63, v72, v63
	s_delay_alu instid0(VALU_DEP_2) | instskip(SKIP_1) | instid1(VALU_DEP_2)
	v_fmamk_f32 v72, v140, 0xbf7ba420, v138
	v_fma_f32 v138, 0xbf7ba420, v140, -v138
	v_add_f32_e32 v68, v72, v68
	v_sub_f32_e32 v72, v88, v91
	v_fmamk_f32 v73, v140, 0xbf59a7d5, v141
	s_delay_alu instid0(VALU_DEP_4) | instskip(NEXT) | instid1(VALU_DEP_2)
	v_dual_add_f32 v69, v138, v69 :: v_dual_add_f32 v138, v89, v90
	v_add_f32_e32 v20, v73, v20
	v_dual_add_f32 v136, v137, v136 :: v_dual_mul_f32 v137, 0x3f65296c, v74
	s_delay_alu instid0(VALU_DEP_1) | instskip(SKIP_1) | instid1(VALU_DEP_2)
	v_fmamk_f32 v73, v140, 0x3ee437d1, v137
	v_fma_f32 v137, 0x3ee437d1, v140, -v137
	v_add_f32_e32 v23, v73, v23
	s_delay_alu instid0(VALU_DEP_2) | instskip(SKIP_2) | instid1(VALU_DEP_2)
	v_add_f32_e32 v57, v137, v57
	v_fmamk_f32 v73, v140, 0xbf1a4643, v139
	v_mul_f32_e32 v139, 0xbe3c28d5, v72
	v_add_f32_e32 v67, v73, v67
	v_mul_f32_e32 v137, 0xbeb8f4ab, v74
	s_delay_alu instid0(VALU_DEP_1) | instskip(SKIP_1) | instid1(VALU_DEP_2)
	v_fmamk_f32 v73, v140, 0x3f6eb680, v137
	v_fma_f32 v137, 0x3f6eb680, v140, -v137
	v_add_f32_e32 v73, v73, v21
	v_mul_f32_e32 v21, 0x3f2c7751, v74
	s_delay_alu instid0(VALU_DEP_3) | instskip(NEXT) | instid1(VALU_DEP_2)
	v_dual_add_f32 v71, v137, v71 :: v_dual_mul_f32 v74, 0xbf763a35, v74
	v_fmamk_f32 v137, v140, 0x3f3d2fb0, v21
	v_fma_f32 v21, 0x3f3d2fb0, v140, -v21
	s_delay_alu instid0(VALU_DEP_3) | instskip(SKIP_1) | instid1(VALU_DEP_4)
	v_fmamk_f32 v141, v140, 0xbe8c1d8e, v74
	v_fma_f32 v74, 0xbe8c1d8e, v140, -v74
	v_add_f32_e32 v136, v137, v136
	s_delay_alu instid0(VALU_DEP_4) | instskip(NEXT) | instid1(VALU_DEP_4)
	v_add_f32_e32 v137, v21, v61
	v_dual_fmamk_f32 v21, v138, 0xbf7ba420, v139 :: v_dual_add_f32 v140, v141, v64
	v_mul_f32_e32 v61, 0x3eb8f4ab, v72
	v_add_f32_e32 v19, v74, v19
	v_fma_f32 v64, 0xbf7ba420, v138, -v139
	s_delay_alu instid0(VALU_DEP_4) | instskip(SKIP_4) | instid1(VALU_DEP_4)
	v_add_f32_e32 v74, v21, v20
	v_mul_f32_e32 v20, 0xbf06c442, v72
	v_fmamk_f32 v139, v138, 0x3f6eb680, v61
	v_fma_f32 v61, 0x3f6eb680, v138, -v61
	v_dual_add_f32 v21, v64, v22 :: v_dual_mul_f32 v64, 0x3f2c7751, v72
	v_fmamk_f32 v141, v138, 0xbf59a7d5, v20
	v_fma_f32 v20, 0xbf59a7d5, v138, -v20
	s_delay_alu instid0(VALU_DEP_4) | instskip(NEXT) | instid1(VALU_DEP_4)
	v_dual_add_f32 v139, v139, v23 :: v_dual_add_f32 v22, v61, v57
	v_fmamk_f32 v57, v138, 0x3f3d2fb0, v64
	s_delay_alu instid0(VALU_DEP_4) | instskip(SKIP_2) | instid1(VALU_DEP_4)
	v_dual_add_f32 v141, v141, v58 :: v_dual_mul_f32 v58, 0xbf4c4adb, v72
	v_fma_f32 v61, 0x3f3d2fb0, v138, -v64
	v_dual_add_f32 v23, v20, v62 :: v_dual_mul_f32 v62, 0x3f65296c, v72
	v_add_f32_e32 v20, v57, v67
	s_delay_alu instid0(VALU_DEP_3) | instskip(SKIP_1) | instid1(VALU_DEP_4)
	v_dual_fmamk_f32 v64, v138, 0xbf1a4643, v58 :: v_dual_add_f32 v57, v61, v63
	v_mul_f32_e32 v67, 0xbf763a35, v72
	v_fmamk_f32 v63, v138, 0x3ee437d1, v62
	v_fma_f32 v58, 0xbf1a4643, v138, -v58
	s_delay_alu instid0(VALU_DEP_4) | instskip(SKIP_1) | instid1(VALU_DEP_4)
	v_add_f32_e32 v61, v64, v73
	v_fma_f32 v64, 0x3ee437d1, v138, -v62
	v_dual_fmamk_f32 v73, v138, 0xbe8c1d8e, v67 :: v_dual_add_f32 v62, v63, v68
	v_mul_f32_e32 v68, 0x3f7ee86f, v72
	s_delay_alu instid0(VALU_DEP_3) | instskip(NEXT) | instid1(VALU_DEP_3)
	v_dual_add_f32 v58, v58, v71 :: v_dual_add_f32 v63, v64, v69
	v_dual_sub_f32 v71, v99, v87 :: v_dual_add_f32 v64, v73, v136
	s_delay_alu instid0(VALU_DEP_3) | instskip(SKIP_3) | instid1(VALU_DEP_3)
	v_fmamk_f32 v69, v138, 0x3dbcf732, v68
	v_fma_f32 v72, 0x3dbcf732, v138, -v68
	v_add_f32_e32 v73, v103, v86
	v_fma_f32 v67, 0xbe8c1d8e, v138, -v67
	v_dual_add_f32 v68, v69, v140 :: v_dual_add_f32 v69, v72, v19
	v_and_b32_e32 v19, 0xffff, v134
	v_mul_f32_e32 v140, 0xbf7ee86f, v71
	s_delay_alu instid0(VALU_DEP_2) | instskip(NEXT) | instid1(VALU_DEP_2)
	v_mad_u32_u24 v19, 0x1dc, v19, 0
	v_fmamk_f32 v143, v73, 0x3dbcf732, v140
	v_fma_f32 v140, 0x3dbcf732, v73, -v140
	s_delay_alu instid0(VALU_DEP_3) | instskip(NEXT) | instid1(VALU_DEP_2)
	v_add3_u32 v19, v19, v135, v127
	v_add_f32_e32 v140, v6, v140
	v_mul_f32_e32 v138, 0xbf65296c, v71
	v_mul_f32_e32 v135, 0xbf763a35, v71
	ds_store_2addr_b32 v19, v70, v74 offset1:7
	v_mul_f32_e32 v74, 0xbf4c4adb, v71
	v_mul_f32_e32 v136, 0xbeb8f4ab, v71
	v_fmamk_f32 v142, v73, 0x3ee437d1, v138
	ds_store_2addr_b32 v19, v139, v141 offset0:14 offset1:21
	v_mul_f32_e32 v139, 0xbf06c442, v71
	s_delay_alu instid0(VALU_DEP_1) | instskip(NEXT) | instid1(VALU_DEP_1)
	v_fmamk_f32 v144, v73, 0xbf59a7d5, v139
	v_add_f32_e32 v144, v6, v144
	v_dual_fmamk_f32 v70, v73, 0xbe8c1d8e, v135 :: v_dual_add_f32 v67, v67, v137
	v_fmamk_f32 v141, v73, 0xbf1a4643, v74
	v_fma_f32 v74, 0xbf1a4643, v73, -v74
	v_mul_f32_e32 v137, 0xbf2c7751, v71
	v_fmamk_f32 v72, v73, 0x3f6eb680, v136
	v_fma_f32 v136, 0x3f6eb680, v73, -v136
	v_fma_f32 v138, 0x3ee437d1, v73, -v138
	v_add_f32_e32 v74, v6, v74
	v_fmamk_f32 v134, v73, 0x3f3d2fb0, v137
	v_fma_f32 v137, 0x3f3d2fb0, v73, -v137
	v_mul_f32_e32 v71, 0xbe3c28d5, v71
	v_fma_f32 v135, 0xbe8c1d8e, v73, -v135
	v_fma_f32 v139, 0xbf59a7d5, v73, -v139
	v_add_f32_e32 v72, v6, v72
	s_delay_alu instid0(VALU_DEP_4)
	v_dual_add_f32 v138, v6, v138 :: v_dual_fmamk_f32 v145, v73, 0xbf7ba420, v71
	v_fma_f32 v71, 0xbf7ba420, v73, -v71
	v_add_f32_e32 v73, v6, v136
	v_add_f32_e32 v136, v6, v137
	;; [unrolled: 1-line block ×4, first 2 shown]
	v_sub_f32_e32 v143, v97, v55
	v_add_f32_e32 v141, v6, v141
	v_add_f32_e32 v134, v6, v134
	v_add_f32_e32 v135, v6, v135
	s_delay_alu instid0(VALU_DEP_4) | instskip(SKIP_2) | instid1(VALU_DEP_3)
	v_dual_add_f32 v70, v6, v70 :: v_dual_mul_f32 v147, 0xbf2c7751, v143
	v_mul_f32_e32 v148, 0xbf7ee86f, v143
	v_mul_f32_e32 v150, 0xbf4c4adb, v143
	v_fmamk_f32 v149, v146, 0x3f3d2fb0, v147
	v_fma_f32 v147, 0x3f3d2fb0, v146, -v147
	s_delay_alu instid0(VALU_DEP_2) | instskip(NEXT) | instid1(VALU_DEP_2)
	v_dual_fmamk_f32 v151, v146, 0x3dbcf732, v148 :: v_dual_add_f32 v72, v149, v72
	v_add_f32_e32 v73, v147, v73
	v_fma_f32 v147, 0x3dbcf732, v146, -v148
	v_fmamk_f32 v148, v146, 0xbf1a4643, v150
	v_mul_f32_e32 v149, 0xbe3c28d5, v143
	v_fma_f32 v150, 0xbf1a4643, v146, -v150
	v_add_f32_e32 v134, v151, v134
	s_delay_alu instid0(VALU_DEP_4) | instskip(NEXT) | instid1(VALU_DEP_4)
	v_dual_add_f32 v136, v147, v136 :: v_dual_add_f32 v137, v148, v137
	v_fmamk_f32 v148, v146, 0xbf7ba420, v149
	s_delay_alu instid0(VALU_DEP_4) | instskip(SKIP_2) | instid1(VALU_DEP_4)
	v_add_f32_e32 v138, v150, v138
	v_mul_f32_e32 v150, 0x3f763a35, v143
	v_fma_f32 v149, 0xbf7ba420, v146, -v149
	v_dual_add_f32 v71, v6, v71 :: v_dual_add_f32 v142, v148, v142
	ds_store_2addr_b32 v19, v20, v61 offset0:28 offset1:35
	ds_store_2addr_b32 v19, v62, v64 offset0:42 offset1:49
	;; [unrolled: 1-line block ×3, first 2 shown]
	v_fmamk_f32 v148, v146, 0xbe8c1d8e, v150
	v_dual_mul_f32 v147, 0x3f06c442, v143 :: v_dual_add_f32 v140, v149, v140
	v_mul_f32_e32 v149, 0x3f65296c, v143
	v_mul_f32_e32 v143, 0x3eb8f4ab, v143
	s_delay_alu instid0(VALU_DEP_4) | instskip(NEXT) | instid1(VALU_DEP_4)
	v_add_f32_e32 v141, v148, v141
	v_fmamk_f32 v151, v146, 0xbf59a7d5, v147
	v_fma_f32 v147, 0xbf59a7d5, v146, -v147
	v_fmamk_f32 v148, v146, 0x3ee437d1, v149
	v_fma_f32 v149, 0x3ee437d1, v146, -v149
	v_add3_u32 v20, v131, v132, v127
	v_add_f32_e32 v70, v151, v70
	v_add_f32_e32 v135, v147, v135
	v_fma_f32 v147, 0xbe8c1d8e, v146, -v150
	v_dual_sub_f32 v150, v60, v65 :: v_dual_fmamk_f32 v151, v146, 0x3f6eb680, v143
	v_fma_f32 v143, 0x3f6eb680, v146, -v143
	v_add_f32_e32 v146, v59, v84
	v_dual_add_f32 v144, v148, v144 :: v_dual_add_f32 v145, v6, v145
	s_delay_alu instid0(VALU_DEP_4)
	v_mul_f32_e32 v148, 0xbf4c4adb, v150
	v_add_f32_e32 v74, v147, v74
	v_mul_f32_e32 v147, 0xbf65296c, v150
	v_add_f32_e32 v71, v143, v71
	v_add_f32_e32 v145, v151, v145
	v_fmamk_f32 v151, v146, 0xbf1a4643, v148
	v_add_f32_e32 v139, v6, v139
	v_dual_mul_f32 v143, 0x3e3c28d5, v150 :: v_dual_add_f32 v6, v6, v103
	s_delay_alu instid0(VALU_DEP_2) | instskip(SKIP_2) | instid1(VALU_DEP_4)
	v_dual_add_f32 v134, v151, v134 :: v_dual_add_f32 v139, v149, v139
	v_fmamk_f32 v149, v146, 0x3ee437d1, v147
	v_fma_f32 v147, 0x3ee437d1, v146, -v147
	v_add_f32_e32 v6, v6, v100
	s_delay_alu instid0(VALU_DEP_2)
	v_dual_add_f32 v72, v149, v72 :: v_dual_add_f32 v73, v147, v73
	v_fma_f32 v147, 0xbf1a4643, v146, -v148
	v_fmamk_f32 v148, v146, 0xbf7ba420, v143
	v_mul_f32_e32 v149, 0x3f763a35, v150
	v_fma_f32 v143, 0xbf7ba420, v146, -v143
	v_add_f32_e32 v6, v6, v59
	v_dual_add_f32 v136, v147, v136 :: v_dual_mul_f32 v147, 0x3f2c7751, v150
	s_delay_alu instid0(VALU_DEP_4) | instskip(NEXT) | instid1(VALU_DEP_4)
	v_dual_add_f32 v137, v148, v137 :: v_dual_fmamk_f32 v148, v146, 0xbe8c1d8e, v149
	v_add_f32_e32 v138, v143, v138
	v_mul_f32_e32 v143, 0xbeb8f4ab, v150
	v_fma_f32 v149, 0xbe8c1d8e, v146, -v149
	v_fmamk_f32 v151, v146, 0x3f3d2fb0, v147
	v_fma_f32 v147, 0x3f3d2fb0, v146, -v147
	v_add_f32_e32 v142, v148, v142
	v_fmamk_f32 v148, v146, 0x3f6eb680, v143
	v_dual_add_f32 v140, v149, v140 :: v_dual_mul_f32 v149, 0xbf7ee86f, v150
	s_delay_alu instid0(VALU_DEP_4)
	v_add_f32_e32 v135, v147, v135
	v_mul_f32_e32 v147, 0xbf06c442, v150
	v_fma_f32 v143, 0x3f6eb680, v146, -v143
	v_sub_f32_e32 v150, v49, v83
	v_add_f32_e32 v70, v151, v70
	v_add_f32_e32 v6, v6, v51
	s_delay_alu instid0(VALU_DEP_4)
	v_add_f32_e32 v74, v143, v74
	v_add_f32_e32 v143, v51, v82
	v_dual_add_f32 v141, v148, v141 :: v_dual_fmamk_f32 v148, v146, 0x3dbcf732, v149
	v_fma_f32 v149, 0x3dbcf732, v146, -v149
	v_fmamk_f32 v151, v146, 0xbf59a7d5, v147
	v_fma_f32 v146, 0xbf59a7d5, v146, -v147
	s_delay_alu instid0(VALU_DEP_4) | instskip(NEXT) | instid1(VALU_DEP_4)
	v_dual_mul_f32 v147, 0xbf7ee86f, v150 :: v_dual_add_f32 v144, v148, v144
	v_dual_add_f32 v139, v149, v139 :: v_dual_mul_f32 v148, 0xbe3c28d5, v150
	s_delay_alu instid0(VALU_DEP_3) | instskip(NEXT) | instid1(VALU_DEP_3)
	v_add_f32_e32 v71, v146, v71
	v_fmamk_f32 v149, v143, 0x3dbcf732, v147
	v_fma_f32 v147, 0x3dbcf732, v143, -v147
	v_dual_mul_f32 v146, 0x3f763a35, v150 :: v_dual_add_f32 v145, v151, v145
	s_delay_alu instid0(VALU_DEP_3) | instskip(NEXT) | instid1(VALU_DEP_3)
	v_dual_fmamk_f32 v151, v143, 0xbf7ba420, v148 :: v_dual_add_f32 v72, v149, v72
	v_add_f32_e32 v73, v147, v73
	v_fma_f32 v147, 0xbf7ba420, v143, -v148
	s_delay_alu instid0(VALU_DEP_4) | instskip(SKIP_3) | instid1(VALU_DEP_4)
	v_fmamk_f32 v148, v143, 0xbe8c1d8e, v146
	v_mul_f32_e32 v149, 0x3eb8f4ab, v150
	v_fma_f32 v146, 0xbe8c1d8e, v143, -v146
	v_add_f32_e32 v134, v151, v134
	v_dual_add_f32 v136, v147, v136 :: v_dual_add_f32 v137, v148, v137
	v_mul_f32_e32 v147, 0xbf65296c, v150
	v_fmamk_f32 v148, v143, 0x3f6eb680, v149
	v_add_f32_e32 v138, v146, v138
	v_mul_f32_e32 v146, 0xbf06c442, v150
	v_fma_f32 v149, 0x3f6eb680, v143, -v149
	s_delay_alu instid0(VALU_DEP_4) | instskip(SKIP_1) | instid1(VALU_DEP_4)
	v_dual_fmamk_f32 v151, v143, 0x3ee437d1, v147 :: v_dual_add_f32 v142, v148, v142
	v_fma_f32 v147, 0x3ee437d1, v143, -v147
	v_fmamk_f32 v148, v143, 0xbf59a7d5, v146
	v_fma_f32 v146, 0xbf59a7d5, v143, -v146
	v_dual_add_f32 v140, v149, v140 :: v_dual_mul_f32 v149, 0x3f4c4adb, v150
	s_delay_alu instid0(VALU_DEP_3) | instskip(NEXT) | instid1(VALU_DEP_3)
	v_dual_add_f32 v70, v151, v70 :: v_dual_add_f32 v141, v148, v141
	v_add_f32_e32 v74, v146, v74
	v_dual_add_f32 v146, v50, v66 :: v_dual_add_f32 v135, v147, v135
	v_dual_mul_f32 v147, 0x3f2c7751, v150 :: v_dual_sub_f32 v150, v54, v81
	v_fmamk_f32 v148, v143, 0xbf1a4643, v149
	v_fma_f32 v149, 0xbf1a4643, v143, -v149
	s_delay_alu instid0(VALU_DEP_3) | instskip(SKIP_1) | instid1(VALU_DEP_4)
	v_dual_add_f32 v6, v6, v50 :: v_dual_fmamk_f32 v151, v143, 0x3f3d2fb0, v147
	v_fma_f32 v143, 0x3f3d2fb0, v143, -v147
	v_dual_mul_f32 v147, 0xbf763a35, v150 :: v_dual_add_f32 v144, v148, v144
	s_delay_alu instid0(VALU_DEP_4) | instskip(NEXT) | instid1(VALU_DEP_3)
	v_dual_add_f32 v139, v149, v139 :: v_dual_mul_f32 v148, 0x3f06c442, v150
	v_add_f32_e32 v71, v143, v71
	s_delay_alu instid0(VALU_DEP_3) | instskip(SKIP_3) | instid1(VALU_DEP_4)
	v_fmamk_f32 v149, v146, 0xbe8c1d8e, v147
	v_fma_f32 v147, 0xbe8c1d8e, v146, -v147
	v_mul_f32_e32 v143, 0x3f2c7751, v150
	v_add_f32_e32 v145, v151, v145
	v_dual_fmamk_f32 v151, v146, 0xbf59a7d5, v148 :: v_dual_add_f32 v72, v149, v72
	s_delay_alu instid0(VALU_DEP_4)
	v_add_f32_e32 v73, v147, v73
	v_fma_f32 v147, 0xbf59a7d5, v146, -v148
	v_fmamk_f32 v148, v146, 0x3f3d2fb0, v143
	v_mul_f32_e32 v149, 0xbf65296c, v150
	v_fma_f32 v143, 0x3f3d2fb0, v146, -v143
	v_add_f32_e32 v134, v151, v134
	v_dual_add_f32 v136, v147, v136 :: v_dual_mul_f32 v147, 0xbe3c28d5, v150
	s_delay_alu instid0(VALU_DEP_4) | instskip(NEXT) | instid1(VALU_DEP_4)
	v_dual_add_f32 v137, v148, v137 :: v_dual_fmamk_f32 v148, v146, 0x3ee437d1, v149
	v_add_f32_e32 v138, v143, v138
	v_mul_f32_e32 v143, 0x3f7ee86f, v150
	v_fma_f32 v149, 0x3ee437d1, v146, -v149
	v_fmamk_f32 v151, v146, 0xbf7ba420, v147
	v_fma_f32 v147, 0xbf7ba420, v146, -v147
	v_add_f32_e32 v142, v148, v142
	v_fmamk_f32 v148, v146, 0x3dbcf732, v143
	v_dual_add_f32 v140, v149, v140 :: v_dual_mul_f32 v149, 0xbeb8f4ab, v150
	s_delay_alu instid0(VALU_DEP_4)
	v_add_f32_e32 v135, v147, v135
	v_mul_f32_e32 v147, 0xbf4c4adb, v150
	v_fma_f32 v143, 0x3dbcf732, v146, -v143
	v_sub_f32_e32 v150, v45, v56
	v_dual_add_f32 v70, v151, v70 :: v_dual_add_f32 v141, v148, v141
	v_fmamk_f32 v148, v146, 0x3f6eb680, v149
	v_fma_f32 v149, 0x3f6eb680, v146, -v149
	v_fmamk_f32 v151, v146, 0xbf1a4643, v147
	v_fma_f32 v146, 0xbf1a4643, v146, -v147
	v_dual_add_f32 v74, v143, v74 :: v_dual_add_f32 v143, v48, v47
	v_dual_mul_f32 v147, 0xbf4c4adb, v150 :: v_dual_add_f32 v144, v148, v144
	v_dual_add_f32 v139, v149, v139 :: v_dual_mul_f32 v148, 0x3f763a35, v150
	s_delay_alu instid0(VALU_DEP_4) | instskip(NEXT) | instid1(VALU_DEP_3)
	v_add_f32_e32 v71, v146, v71
	v_fmamk_f32 v149, v143, 0xbf1a4643, v147
	v_fma_f32 v147, 0xbf1a4643, v143, -v147
	v_dual_mul_f32 v146, 0xbeb8f4ab, v150 :: v_dual_add_f32 v145, v151, v145
	s_delay_alu instid0(VALU_DEP_3) | instskip(NEXT) | instid1(VALU_DEP_3)
	v_dual_fmamk_f32 v151, v143, 0xbe8c1d8e, v148 :: v_dual_add_f32 v72, v149, v72
	v_add_f32_e32 v73, v147, v73
	v_fma_f32 v147, 0xbe8c1d8e, v143, -v148
	v_mul_f32_e32 v149, 0xbf06c442, v150
	s_delay_alu instid0(VALU_DEP_4) | instskip(SKIP_1) | instid1(VALU_DEP_4)
	v_add_f32_e32 v134, v151, v134
	v_add_f32_e32 v6, v6, v48
	v_dual_add_f32 v136, v147, v136 :: v_dual_mul_f32 v147, 0x3f7ee86f, v150
	s_delay_alu instid0(VALU_DEP_1) | instskip(NEXT) | instid1(VALU_DEP_1)
	v_dual_add_f32 v6, v6, v42 :: v_dual_fmamk_f32 v151, v143, 0x3dbcf732, v147
	v_add_f32_e32 v6, v6, v38
	s_delay_alu instid0(VALU_DEP_2) | instskip(SKIP_3) | instid1(VALU_DEP_3)
	v_add_f32_e32 v70, v151, v70
	v_fmamk_f32 v148, v143, 0x3f6eb680, v146
	v_fma_f32 v146, 0x3f6eb680, v143, -v146
	v_fma_f32 v147, 0x3dbcf732, v143, -v147
	v_dual_add_f32 v6, v6, v40 :: v_dual_add_f32 v137, v148, v137
	v_fmamk_f32 v148, v143, 0xbf59a7d5, v149
	s_delay_alu instid0(VALU_DEP_4) | instskip(SKIP_2) | instid1(VALU_DEP_4)
	v_add_f32_e32 v138, v146, v138
	v_mul_f32_e32 v146, 0xbf2c7751, v150
	v_fma_f32 v149, 0xbf59a7d5, v143, -v149
	v_dual_add_f32 v135, v147, v135 :: v_dual_add_f32 v142, v148, v142
	v_mul_f32_e32 v147, 0x3f65296c, v150
	s_delay_alu instid0(VALU_DEP_4) | instskip(NEXT) | instid1(VALU_DEP_4)
	v_fmamk_f32 v148, v143, 0x3f3d2fb0, v146
	v_dual_add_f32 v140, v149, v140 :: v_dual_mul_f32 v149, 0xbe3c28d5, v150
	v_fma_f32 v146, 0x3f3d2fb0, v143, -v146
	v_sub_f32_e32 v150, v44, v46
	s_delay_alu instid0(VALU_DEP_4)
	v_add_f32_e32 v141, v148, v141
	v_fmamk_f32 v151, v143, 0x3ee437d1, v147
	v_fmamk_f32 v148, v143, 0xbf7ba420, v149
	v_fma_f32 v149, 0xbf7ba420, v143, -v149
	v_fma_f32 v143, 0x3ee437d1, v143, -v147
	v_add_f32_e32 v74, v146, v74
	v_dual_add_f32 v146, v42, v43 :: v_dual_mul_f32 v147, 0xbf06c442, v150
	s_delay_alu instid0(VALU_DEP_4) | instskip(SKIP_1) | instid1(VALU_DEP_3)
	v_dual_add_f32 v144, v148, v144 :: v_dual_add_f32 v139, v149, v139
	v_dual_mul_f32 v148, 0x3f65296c, v150 :: v_dual_add_f32 v145, v151, v145
	v_fmamk_f32 v149, v146, 0xbf59a7d5, v147
	v_fma_f32 v147, 0xbf59a7d5, v146, -v147
	v_add_f32_e32 v71, v143, v71
	s_delay_alu instid0(VALU_DEP_4) | instskip(SKIP_1) | instid1(VALU_DEP_4)
	v_fmamk_f32 v151, v146, 0x3ee437d1, v148
	v_dual_mul_f32 v143, 0xbf7ee86f, v150 :: v_dual_add_f32 v6, v6, v43
	v_add_f32_e32 v73, v147, v73
	v_fma_f32 v147, 0x3ee437d1, v146, -v148
	s_delay_alu instid0(VALU_DEP_4) | instskip(NEXT) | instid1(VALU_DEP_4)
	v_add_f32_e32 v134, v151, v134
	v_fmamk_f32 v148, v146, 0x3dbcf732, v143
	v_fma_f32 v143, 0x3dbcf732, v146, -v143
	v_add_f32_e32 v6, v6, v47
	v_dual_add_f32 v136, v147, v136 :: v_dual_mul_f32 v147, 0xbeb8f4ab, v150
	s_delay_alu instid0(VALU_DEP_3) | instskip(SKIP_1) | instid1(VALU_DEP_3)
	v_dual_add_f32 v138, v143, v138 :: v_dual_add_f32 v137, v148, v137
	v_mul_f32_e32 v148, 0xbe3c28d5, v150
	v_fmamk_f32 v151, v146, 0x3f6eb680, v147
	v_fma_f32 v147, 0x3f6eb680, v146, -v147
	v_add_f32_e32 v6, v6, v66
	s_delay_alu instid0(VALU_DEP_3) | instskip(SKIP_1) | instid1(VALU_DEP_1)
	v_add_f32_e32 v70, v151, v70
	v_dual_add_f32 v72, v149, v72 :: v_dual_mul_f32 v149, 0x3f4c4adb, v150
	v_fmamk_f32 v143, v146, 0xbf1a4643, v149
	v_fma_f32 v149, 0xbf1a4643, v146, -v149
	s_delay_alu instid0(VALU_DEP_2) | instskip(SKIP_1) | instid1(VALU_DEP_2)
	v_dual_add_f32 v142, v143, v142 :: v_dual_fmamk_f32 v143, v146, 0xbf7ba420, v148
	v_fma_f32 v148, 0xbf7ba420, v146, -v148
	v_dual_add_f32 v140, v149, v140 :: v_dual_add_f32 v141, v143, v141
	s_delay_alu instid0(VALU_DEP_2) | instskip(SKIP_4) | instid1(VALU_DEP_3)
	v_add_f32_e32 v74, v148, v74
	v_dual_add_f32 v148, v38, v40 :: v_dual_add_f32 v135, v147, v135
	v_mul_f32_e32 v147, 0x3f2c7751, v150
	v_add_f32_e32 v6, v6, v82
	v_mul_f32_e32 v143, 0xbf763a35, v150
	v_fmamk_f32 v149, v146, 0x3f3d2fb0, v147
	v_fma_f32 v147, 0x3f3d2fb0, v146, -v147
	s_delay_alu instid0(VALU_DEP_4) | instskip(NEXT) | instid1(VALU_DEP_4)
	v_add_f32_e32 v6, v6, v84
	v_fmamk_f32 v150, v146, 0xbe8c1d8e, v143
	v_fma_f32 v143, 0xbe8c1d8e, v146, -v143
	v_sub_f32_e32 v146, v41, v39
	v_dual_add_f32 v139, v147, v139 :: v_dual_add_f32 v144, v149, v144
	s_delay_alu instid0(VALU_DEP_4) | instskip(NEXT) | instid1(VALU_DEP_4)
	v_add_f32_e32 v145, v150, v145
	v_add_f32_e32 v71, v143, v71
	s_delay_alu instid0(VALU_DEP_4) | instskip(SKIP_1) | instid1(VALU_DEP_2)
	v_dual_mul_f32 v149, 0xbe3c28d5, v146 :: v_dual_add_f32 v6, v6, v85
	v_mul_f32_e32 v147, 0x3eb8f4ab, v146
	v_fmamk_f32 v150, v148, 0xbf7ba420, v149
	v_fma_f32 v149, 0xbf7ba420, v148, -v149
	s_delay_alu instid0(VALU_DEP_3) | instskip(NEXT) | instid1(VALU_DEP_2)
	v_dual_fmamk_f32 v143, v148, 0x3f6eb680, v147 :: v_dual_add_f32 v6, v6, v86
	v_dual_add_f32 v72, v150, v72 :: v_dual_add_f32 v73, v149, v73
	v_mul_f32_e32 v149, 0xbf06c442, v146
	s_delay_alu instid0(VALU_DEP_3) | instskip(SKIP_2) | instid1(VALU_DEP_4)
	v_add_f32_e32 v134, v143, v134
	v_fma_f32 v143, 0x3f6eb680, v148, -v147
	v_mul_f32_e32 v147, 0x3f2c7751, v146
	v_fmamk_f32 v150, v148, 0xbf59a7d5, v149
	v_fma_f32 v149, 0xbf59a7d5, v148, -v149
	s_delay_alu instid0(VALU_DEP_3) | instskip(NEXT) | instid1(VALU_DEP_2)
	v_dual_add_f32 v136, v143, v136 :: v_dual_fmamk_f32 v143, v148, 0x3f3d2fb0, v147
	v_add_f32_e32 v138, v149, v138
	v_mul_f32_e32 v149, 0xbf4c4adb, v146
	s_delay_alu instid0(VALU_DEP_3) | instskip(SKIP_2) | instid1(VALU_DEP_4)
	v_add_f32_e32 v142, v143, v142
	v_fma_f32 v143, 0x3f3d2fb0, v148, -v147
	v_mul_f32_e32 v147, 0x3f65296c, v146
	v_dual_add_f32 v137, v150, v137 :: v_dual_fmamk_f32 v150, v148, 0xbf1a4643, v149
	v_fma_f32 v149, 0xbf1a4643, v148, -v149
	s_delay_alu instid0(VALU_DEP_3) | instskip(NEXT) | instid1(VALU_DEP_2)
	v_dual_add_f32 v140, v143, v140 :: v_dual_fmamk_f32 v143, v148, 0x3ee437d1, v147
	v_dual_add_f32 v70, v150, v70 :: v_dual_add_f32 v135, v149, v135
	v_mul_f32_e32 v149, 0xbf763a35, v146
	s_delay_alu instid0(VALU_DEP_3) | instskip(SKIP_2) | instid1(VALU_DEP_4)
	v_add_f32_e32 v141, v143, v141
	v_mul_f32_e32 v143, 0x3f7ee86f, v146
	v_fma_f32 v146, 0x3ee437d1, v148, -v147
	v_fmamk_f32 v147, v148, 0xbe8c1d8e, v149
	v_fma_f32 v149, 0xbe8c1d8e, v148, -v149
	s_delay_alu instid0(VALU_DEP_4) | instskip(SKIP_2) | instid1(VALU_DEP_4)
	v_fmamk_f32 v150, v148, 0x3dbcf732, v143
	v_fma_f32 v143, 0x3dbcf732, v148, -v143
	v_add_f32_e32 v74, v146, v74
	v_dual_add_f32 v144, v147, v144 :: v_dual_add_f32 v139, v149, v139
	s_delay_alu instid0(VALU_DEP_4) | instskip(NEXT) | instid1(VALU_DEP_4)
	v_add_f32_e32 v145, v150, v145
	v_add_f32_e32 v71, v143, v71
	ds_store_2addr_b32 v19, v67, v63 offset0:70 offset1:77
	ds_store_2addr_b32 v19, v58, v57 offset0:84 offset1:91
	;; [unrolled: 1-line block ×3, first 2 shown]
	ds_store_b32 v19, v21 offset:448
	ds_store_2addr_b32 v20, v6, v72 offset1:7
	ds_store_2addr_b32 v20, v134, v137 offset0:14 offset1:21
	ds_store_2addr_b32 v20, v142, v70 offset0:28 offset1:35
	;; [unrolled: 1-line block ×4, first 2 shown]
	v_lshlrev_b32_e32 v6, 2, v133
	ds_store_2addr_b32 v20, v139, v74 offset0:70 offset1:77
	ds_store_2addr_b32 v20, v135, v140 offset0:84 offset1:91
	;; [unrolled: 1-line block ×3, first 2 shown]
	ds_store_b32 v20, v73 offset:448
	s_and_saveexec_b32 s1, s0
	s_cbranch_execz .LBB0_18
; %bb.17:
	v_dual_sub_f32 v64, v80, v18 :: v_dual_sub_f32 v69, v77, v11
	v_dual_add_f32 v62, v78, v79 :: v_dual_add_f32 v21, v37, v52
	v_dual_add_f32 v57, v76, v75 :: v_dual_sub_f32 v70, v53, v10
	s_delay_alu instid0(VALU_DEP_3) | instskip(NEXT) | instid1(VALU_DEP_4)
	v_dual_mul_f32 v73, 0xbe3c28d5, v64 :: v_dual_add_f32 v22, v31, v30
	v_dual_mul_f32 v74, 0x3eb8f4ab, v69 :: v_dual_add_f32 v23, v29, v26
	v_dual_sub_f32 v67, v24, v17 :: v_dual_sub_f32 v68, v15, v16
	s_delay_alu instid0(VALU_DEP_3) | instskip(SKIP_1) | instid1(VALU_DEP_4)
	v_fma_f32 v58, 0xbf7ba420, v62, -v73
	v_mul_f32_e32 v131, 0xbf06c442, v70
	v_fma_f32 v61, 0x3f6eb680, v57, -v74
	s_delay_alu instid0(VALU_DEP_4) | instskip(SKIP_4) | instid1(VALU_DEP_3)
	v_mul_f32_e32 v132, 0x3f2c7751, v67
	v_fmac_f32_e32 v73, 0xbf7ba420, v62
	v_dual_add_f32 v63, v4, v58 :: v_dual_add_f32 v58, v27, v28
	v_fma_f32 v133, 0xbf59a7d5, v21, -v131
	v_dual_sub_f32 v71, v13, v14 :: v_dual_sub_f32 v72, v8, v12
	v_dual_add_f32 v61, v61, v63 :: v_dual_mul_f32 v134, 0xbf4c4adb, v68
	v_add_f32_e32 v73, v4, v73
	v_fmac_f32_e32 v74, 0x3f6eb680, v57
	s_delay_alu instid0(VALU_DEP_4) | instskip(NEXT) | instid1(VALU_DEP_4)
	v_dual_add_f32 v63, v9, v25 :: v_dual_mul_f32 v136, 0x3f65296c, v71
	v_add_f32_e32 v133, v133, v61
	v_add_f32_e32 v61, v3, v7
	v_fmac_f32_e32 v131, 0xbf59a7d5, v21
	v_add_f32_e32 v73, v74, v73
	v_fma_f32 v135, 0x3f3d2fb0, v22, -v132
	v_fma_f32 v138, 0x3ee437d1, v58, -v136
	v_fmac_f32_e32 v136, 0x3ee437d1, v58
	s_delay_alu instid0(VALU_DEP_4) | instskip(SKIP_3) | instid1(VALU_DEP_4)
	v_dual_fmac_f32 v132, 0x3f3d2fb0, v22 :: v_dual_add_f32 v73, v131, v73
	v_fma_f32 v137, 0xbf1a4643, v23, -v134
	v_dual_add_f32 v133, v135, v133 :: v_dual_fmac_f32 v134, 0xbf1a4643, v23
	v_sub_f32_e32 v74, v1, v5
	v_dual_add_f32 v73, v132, v73 :: v_dual_mul_f32 v140, 0xbf7ee86f, v70
	s_delay_alu instid0(VALU_DEP_3) | instskip(SKIP_1) | instid1(VALU_DEP_3)
	v_add_f32_e32 v133, v137, v133
	v_mul_f32_e32 v137, 0xbf06c442, v64
	v_dual_mul_f32 v132, 0x3f7ee86f, v74 :: v_dual_add_f32 v73, v134, v73
	v_mul_f32_e32 v135, 0xbf763a35, v72
	s_delay_alu instid0(VALU_DEP_4) | instskip(NEXT) | instid1(VALU_DEP_4)
	v_add_f32_e32 v133, v138, v133
	v_fma_f32 v131, 0xbf59a7d5, v62, -v137
	v_mul_f32_e32 v138, 0x3f65296c, v69
	v_add_f32_e32 v136, v136, v73
	v_fma_f32 v139, 0xbe8c1d8e, v63, -v135
	v_fma_f32 v134, 0x3dbcf732, v61, -v132
	v_add_f32_e32 v131, v4, v131
	v_fmac_f32_e32 v135, 0xbe8c1d8e, v63
	v_fmac_f32_e32 v137, 0xbf59a7d5, v62
	v_add_f32_e32 v133, v139, v133
	v_fma_f32 v139, 0x3ee437d1, v57, -v138
	v_mul_f32_e32 v141, 0x3f4c4adb, v67
	v_dual_add_f32 v135, v135, v136 :: v_dual_fmac_f32 v132, 0x3dbcf732, v61
	s_delay_alu instid0(VALU_DEP_4) | instskip(NEXT) | instid1(VALU_DEP_4)
	v_add_f32_e32 v73, v134, v133
	v_add_f32_e32 v131, v139, v131
	v_fma_f32 v139, 0x3dbcf732, v21, -v140
	v_fma_f32 v133, 0xbf1a4643, v22, -v141
	v_mul_f32_e32 v134, 0xbeb8f4ab, v68
	v_fmac_f32_e32 v138, 0x3ee437d1, v57
	s_delay_alu instid0(VALU_DEP_4) | instskip(SKIP_1) | instid1(VALU_DEP_4)
	v_dual_fmac_f32 v140, 0x3dbcf732, v21 :: v_dual_add_f32 v131, v139, v131
	v_mul_f32_e32 v139, 0xbe3c28d5, v71
	v_fma_f32 v136, 0x3f6eb680, v23, -v134
	v_fmac_f32_e32 v134, 0x3f6eb680, v23
	v_mul_f32_e32 v147, 0x3f763a35, v70
	v_add_f32_e32 v133, v133, v131
	v_add_f32_e32 v131, v132, v135
	;; [unrolled: 1-line block ×3, first 2 shown]
	v_fma_f32 v135, 0xbf7ba420, v58, -v139
	v_mul_f32_e32 v149, 0xbf4c4adb, v70
	v_mul_f32_e32 v148, 0x3e3c28d5, v70
	s_delay_alu instid0(VALU_DEP_4) | instskip(SKIP_2) | instid1(VALU_DEP_3)
	v_add_f32_e32 v132, v138, v132
	v_mul_f32_e32 v138, 0x3f763a35, v69
	v_dual_add_f32 v133, v136, v133 :: v_dual_mul_f32 v136, 0xbf4c4adb, v64
	v_add_f32_e32 v132, v140, v132
	s_delay_alu instid0(VALU_DEP_3) | instskip(NEXT) | instid1(VALU_DEP_3)
	v_fma_f32 v140, 0xbe8c1d8e, v57, -v138
	v_add_f32_e32 v133, v135, v133
	s_delay_alu instid0(VALU_DEP_4) | instskip(SKIP_2) | instid1(VALU_DEP_3)
	v_fma_f32 v135, 0xbf1a4643, v62, -v136
	v_fmac_f32_e32 v136, 0xbf1a4643, v62
	v_fmac_f32_e32 v141, 0xbf1a4643, v22
	v_dual_fmac_f32 v138, 0xbe8c1d8e, v57 :: v_dual_add_f32 v135, v4, v135
	s_delay_alu instid0(VALU_DEP_3) | instskip(NEXT) | instid1(VALU_DEP_3)
	v_dual_add_f32 v136, v4, v136 :: v_dual_mul_f32 v143, 0xbeb8f4ab, v70
	v_dual_add_f32 v132, v141, v132 :: v_dual_mul_f32 v141, 0xbf06c442, v67
	s_delay_alu instid0(VALU_DEP_2) | instskip(NEXT) | instid1(VALU_DEP_3)
	v_dual_add_f32 v135, v140, v135 :: v_dual_add_f32 v136, v138, v136
	v_fma_f32 v140, 0x3f6eb680, v21, -v143
	s_delay_alu instid0(VALU_DEP_3) | instskip(NEXT) | instid1(VALU_DEP_2)
	v_add_f32_e32 v132, v134, v132
	v_add_f32_e32 v134, v140, v135
	v_fma_f32 v135, 0xbf59a7d5, v22, -v141
	v_mul_f32_e32 v140, 0x3f7ee86f, v68
	s_delay_alu instid0(VALU_DEP_2) | instskip(NEXT) | instid1(VALU_DEP_2)
	v_add_f32_e32 v134, v135, v134
	v_fma_f32 v135, 0x3dbcf732, v23, -v140
	v_mul_f32_e32 v137, 0x3f2c7751, v72
	v_fmac_f32_e32 v140, 0x3dbcf732, v23
	v_fmac_f32_e32 v143, 0x3f6eb680, v21
	v_fmac_f32_e32 v139, 0xbf7ba420, v58
	v_add_f32_e32 v134, v135, v134
	v_fma_f32 v142, 0x3f3d2fb0, v63, -v137
	s_delay_alu instid0(VALU_DEP_4) | instskip(NEXT) | instid1(VALU_DEP_4)
	v_dual_fmac_f32 v137, 0x3f3d2fb0, v63 :: v_dual_add_f32 v136, v143, v136
	v_dual_add_f32 v132, v139, v132 :: v_dual_mul_f32 v139, 0xbf2c7751, v71
	s_delay_alu instid0(VALU_DEP_1) | instskip(NEXT) | instid1(VALU_DEP_2)
	v_add_f32_e32 v132, v137, v132
	v_fma_f32 v135, 0x3f3d2fb0, v58, -v139
	v_dual_add_f32 v133, v142, v133 :: v_dual_mul_f32 v142, 0xbf763a35, v74
	s_delay_alu instid0(VALU_DEP_2) | instskip(NEXT) | instid1(VALU_DEP_2)
	v_add_f32_e32 v134, v135, v134
	v_fma_f32 v144, 0xbe8c1d8e, v61, -v142
	v_fmac_f32_e32 v142, 0xbe8c1d8e, v61
	s_delay_alu instid0(VALU_DEP_2) | instskip(NEXT) | instid1(VALU_DEP_2)
	v_dual_add_f32 v133, v144, v133 :: v_dual_mul_f32 v144, 0xbf763a35, v64
	v_dual_add_f32 v132, v142, v132 :: v_dual_fmac_f32 v141, 0xbf59a7d5, v22
	v_mul_f32_e32 v142, 0x3f65296c, v74
	s_delay_alu instid0(VALU_DEP_2) | instskip(NEXT) | instid1(VALU_DEP_2)
	v_add_f32_e32 v136, v141, v136
	v_fma_f32 v141, 0x3ee437d1, v61, -v142
	v_mul_f32_e32 v137, 0xbe3c28d5, v72
	s_delay_alu instid0(VALU_DEP_3) | instskip(NEXT) | instid1(VALU_DEP_2)
	v_add_f32_e32 v136, v140, v136
	v_fma_f32 v135, 0xbf7ba420, v63, -v137
	s_delay_alu instid0(VALU_DEP_1) | instskip(SKIP_3) | instid1(VALU_DEP_3)
	v_add_f32_e32 v134, v135, v134
	v_fma_f32 v135, 0xbe8c1d8e, v62, -v144
	v_mul_f32_e32 v138, 0x3f06c442, v69
	v_fmac_f32_e32 v144, 0xbe8c1d8e, v62
	v_dual_add_f32 v134, v141, v134 :: v_dual_add_f32 v135, v4, v135
	s_delay_alu instid0(VALU_DEP_3) | instskip(SKIP_2) | instid1(VALU_DEP_3)
	v_fma_f32 v143, 0xbf59a7d5, v57, -v138
	v_fmac_f32_e32 v137, 0xbf7ba420, v63
	v_mul_f32_e32 v141, 0xbe3c28d5, v68
	v_dual_add_f32 v135, v143, v135 :: v_dual_fmac_f32 v142, 0x3ee437d1, v61
	v_fmac_f32_e32 v139, 0x3f3d2fb0, v58
	s_delay_alu instid0(VALU_DEP_1) | instskip(SKIP_1) | instid1(VALU_DEP_2)
	v_dual_add_f32 v136, v139, v136 :: v_dual_mul_f32 v145, 0x3f2c7751, v70
	v_mul_f32_e32 v70, 0xbf65296c, v70
	v_add_f32_e32 v136, v137, v136
	s_delay_alu instid0(VALU_DEP_3) | instskip(SKIP_2) | instid1(VALU_DEP_3)
	v_fma_f32 v143, 0x3f3d2fb0, v21, -v145
	v_dual_add_f32 v137, v4, v144 :: v_dual_mul_f32 v144, 0xbe3c28d5, v69
	v_fma_f32 v139, 0xbf7ba420, v23, -v141
	v_dual_fmac_f32 v138, 0xbf59a7d5, v57 :: v_dual_add_f32 v135, v143, v135
	v_mul_f32_e32 v146, 0xbf65296c, v67
	v_fmac_f32_e32 v145, 0x3f3d2fb0, v21
	v_fmac_f32_e32 v141, 0xbf7ba420, v23
	s_delay_alu instid0(VALU_DEP_4) | instskip(NEXT) | instid1(VALU_DEP_4)
	v_add_f32_e32 v137, v138, v137
	v_fma_f32 v140, 0x3ee437d1, v22, -v146
	s_delay_alu instid0(VALU_DEP_2) | instskip(NEXT) | instid1(VALU_DEP_2)
	v_dual_fmac_f32 v146, 0x3ee437d1, v22 :: v_dual_add_f32 v137, v145, v137
	v_add_f32_e32 v135, v140, v135
	s_delay_alu instid0(VALU_DEP_2) | instskip(SKIP_1) | instid1(VALU_DEP_3)
	v_dual_mul_f32 v140, 0x3f7ee86f, v71 :: v_dual_add_f32 v137, v146, v137
	v_fma_f32 v146, 0xbf7ba420, v57, -v144
	v_add_f32_e32 v135, v139, v135
	s_delay_alu instid0(VALU_DEP_3) | instskip(SKIP_3) | instid1(VALU_DEP_4)
	v_fma_f32 v139, 0x3dbcf732, v58, -v140
	v_fmac_f32_e32 v140, 0x3dbcf732, v58
	v_fmac_f32_e32 v144, 0xbf7ba420, v57
	v_add_f32_e32 v137, v141, v137
	v_add_f32_e32 v135, v139, v135
	v_mul_f32_e32 v139, 0xbf7ee86f, v64
	v_add_f32_e32 v136, v142, v136
	s_delay_alu instid0(VALU_DEP_2) | instskip(SKIP_1) | instid1(VALU_DEP_2)
	v_fma_f32 v142, 0x3dbcf732, v62, -v139
	v_fmac_f32_e32 v139, 0x3dbcf732, v62
	v_add_f32_e32 v142, v4, v142
	s_delay_alu instid0(VALU_DEP_2) | instskip(NEXT) | instid1(VALU_DEP_2)
	v_add_f32_e32 v139, v4, v139
	v_add_f32_e32 v141, v146, v142
	v_fma_f32 v142, 0xbe8c1d8e, v21, -v147
	s_delay_alu instid0(VALU_DEP_3) | instskip(SKIP_2) | instid1(VALU_DEP_4)
	v_dual_add_f32 v139, v144, v139 :: v_dual_mul_f32 v144, 0x3f4c4adb, v72
	v_mul_f32_e32 v143, 0xbeb8f4ab, v72
	v_add_f32_e32 v137, v140, v137
	v_add_f32_e32 v140, v142, v141
	v_mul_f32_e32 v142, 0xbf65296c, v68
	v_mul_f32_e32 v146, 0x3f2c7751, v74
	v_fma_f32 v138, 0x3f6eb680, v63, -v143
	v_fmac_f32_e32 v143, 0x3f6eb680, v63
	s_delay_alu instid0(VALU_DEP_2) | instskip(NEXT) | instid1(VALU_DEP_2)
	v_dual_add_f32 v135, v138, v135 :: v_dual_mul_f32 v138, 0xbf4c4adb, v74
	v_add_f32_e32 v137, v143, v137
	v_mul_f32_e32 v143, 0xbf06c442, v71
	s_delay_alu instid0(VALU_DEP_3) | instskip(NEXT) | instid1(VALU_DEP_1)
	v_fma_f32 v145, 0xbf1a4643, v61, -v138
	v_dual_fmac_f32 v138, 0xbf1a4643, v61 :: v_dual_add_f32 v135, v145, v135
	v_mul_f32_e32 v145, 0x3eb8f4ab, v67
	s_delay_alu instid0(VALU_DEP_2) | instskip(NEXT) | instid1(VALU_DEP_2)
	v_add_f32_e32 v137, v138, v137
	v_fma_f32 v141, 0x3f6eb680, v22, -v145
	s_delay_alu instid0(VALU_DEP_1) | instskip(SKIP_2) | instid1(VALU_DEP_2)
	v_dual_fmac_f32 v145, 0x3f6eb680, v22 :: v_dual_add_f32 v140, v141, v140
	v_fma_f32 v141, 0x3ee437d1, v23, -v142
	v_fmac_f32_e32 v142, 0x3ee437d1, v23
	v_dual_add_f32 v140, v141, v140 :: v_dual_fmac_f32 v147, 0xbe8c1d8e, v21
	v_fma_f32 v141, 0xbf59a7d5, v58, -v143
	s_delay_alu instid0(VALU_DEP_1)
	v_dual_add_f32 v138, v147, v139 :: v_dual_add_f32 v139, v141, v140
	v_fma_f32 v140, 0xbf1a4643, v63, -v144
	v_fmac_f32_e32 v144, 0xbf1a4643, v63
	v_fma_f32 v147, 0x3f3d2fb0, v61, -v146
	v_fmac_f32_e32 v146, 0x3f3d2fb0, v61
	v_dual_mul_f32 v141, 0xbf65296c, v64 :: v_dual_add_f32 v138, v145, v138
	v_add_f32_e32 v139, v140, v139
	v_mul_f32_e32 v145, 0xbf4c4adb, v69
	s_delay_alu instid0(VALU_DEP_3) | instskip(NEXT) | instid1(VALU_DEP_4)
	v_fma_f32 v140, 0x3ee437d1, v62, -v141
	v_add_f32_e32 v138, v142, v138
	s_delay_alu instid0(VALU_DEP_3) | instskip(NEXT) | instid1(VALU_DEP_3)
	v_fma_f32 v142, 0xbf1a4643, v57, -v145
	v_add_f32_e32 v140, v4, v140
	s_delay_alu instid0(VALU_DEP_1) | instskip(SKIP_3) | instid1(VALU_DEP_3)
	v_add_f32_e32 v140, v142, v140
	v_fma_f32 v142, 0xbf7ba420, v21, -v148
	v_dual_fmac_f32 v148, 0xbf7ba420, v21 :: v_dual_add_f32 v139, v147, v139
	v_mul_f32_e32 v147, 0x3f2c7751, v68
	v_dual_add_f32 v140, v142, v140 :: v_dual_fmac_f32 v143, 0xbf59a7d5, v58
	s_delay_alu instid0(VALU_DEP_1) | instskip(NEXT) | instid1(VALU_DEP_1)
	v_dual_add_f32 v138, v143, v138 :: v_dual_mul_f32 v143, 0x3f763a35, v67
	v_add_f32_e32 v138, v144, v138
	s_delay_alu instid0(VALU_DEP_2) | instskip(SKIP_1) | instid1(VALU_DEP_2)
	v_fma_f32 v142, 0xbe8c1d8e, v22, -v143
	v_mul_f32_e32 v144, 0xbeb8f4ab, v71
	v_dual_fmac_f32 v143, 0xbe8c1d8e, v22 :: v_dual_add_f32 v140, v142, v140
	v_fma_f32 v142, 0x3f3d2fb0, v23, -v147
	v_dual_fmac_f32 v147, 0x3f3d2fb0, v23 :: v_dual_add_f32 v138, v146, v138
	v_mul_f32_e32 v146, 0xbf06c442, v74
	s_delay_alu instid0(VALU_DEP_3) | instskip(SKIP_3) | instid1(VALU_DEP_3)
	v_add_f32_e32 v140, v142, v140
	v_fma_f32 v142, 0x3f6eb680, v58, -v144
	v_fmac_f32_e32 v145, 0xbf1a4643, v57
	v_fmac_f32_e32 v144, 0x3f6eb680, v58
	v_dual_add_f32 v140, v142, v140 :: v_dual_fmac_f32 v141, 0x3ee437d1, v62
	s_delay_alu instid0(VALU_DEP_1) | instskip(NEXT) | instid1(VALU_DEP_1)
	v_add_f32_e32 v141, v4, v141
	v_add_f32_e32 v141, v145, v141
	v_mul_f32_e32 v145, 0xbf7ee86f, v72
	s_delay_alu instid0(VALU_DEP_2) | instskip(NEXT) | instid1(VALU_DEP_2)
	v_add_f32_e32 v141, v148, v141
	v_fma_f32 v142, 0x3dbcf732, v63, -v145
	v_fma_f32 v148, 0xbf59a7d5, v61, -v146
	v_fmac_f32_e32 v145, 0x3dbcf732, v63
	s_delay_alu instid0(VALU_DEP_4) | instskip(SKIP_2) | instid1(VALU_DEP_3)
	v_add_f32_e32 v141, v143, v141
	v_mul_f32_e32 v143, 0xbf2c7751, v64
	v_add_f32_e32 v140, v142, v140
	v_dual_mul_f32 v64, 0xbeb8f4ab, v64 :: v_dual_add_f32 v141, v147, v141
	s_delay_alu instid0(VALU_DEP_3) | instskip(NEXT) | instid1(VALU_DEP_3)
	v_fma_f32 v142, 0x3f3d2fb0, v62, -v143
	v_dual_mul_f32 v147, 0xbf7ee86f, v69 :: v_dual_add_f32 v140, v148, v140
	s_delay_alu instid0(VALU_DEP_3) | instskip(NEXT) | instid1(VALU_DEP_3)
	v_dual_mul_f32 v148, 0x3f763a35, v71 :: v_dual_add_f32 v141, v144, v141
	v_add_f32_e32 v142, v4, v142
	s_delay_alu instid0(VALU_DEP_3) | instskip(NEXT) | instid1(VALU_DEP_3)
	v_fma_f32 v144, 0x3dbcf732, v57, -v147
	v_add_f32_e32 v141, v145, v141
	s_delay_alu instid0(VALU_DEP_2) | instskip(SKIP_1) | instid1(VALU_DEP_1)
	v_dual_mul_f32 v145, 0xbe3c28d5, v67 :: v_dual_add_f32 v142, v144, v142
	v_fma_f32 v144, 0xbf1a4643, v21, -v149
	v_add_f32_e32 v142, v144, v142
	s_delay_alu instid0(VALU_DEP_3) | instskip(NEXT) | instid1(VALU_DEP_1)
	v_fma_f32 v144, 0xbf7ba420, v22, -v145
	v_add_f32_e32 v142, v144, v142
	v_add_f32_e32 v144, v4, v78
	s_delay_alu instid0(VALU_DEP_1) | instskip(NEXT) | instid1(VALU_DEP_1)
	v_add_f32_e32 v144, v144, v76
	v_add_f32_e32 v144, v144, v37
	s_delay_alu instid0(VALU_DEP_1) | instskip(NEXT) | instid1(VALU_DEP_1)
	v_dual_add_f32 v144, v144, v31 :: v_dual_fmac_f32 v147, 0x3dbcf732, v57
	v_dual_add_f32 v144, v144, v29 :: v_dual_fmac_f32 v143, 0x3f3d2fb0, v62
	s_delay_alu instid0(VALU_DEP_1) | instskip(NEXT) | instid1(VALU_DEP_2)
	v_dual_fmac_f32 v149, 0xbf1a4643, v21 :: v_dual_add_f32 v144, v144, v27
	v_dual_fmac_f32 v146, 0xbf59a7d5, v61 :: v_dual_add_f32 v143, v4, v143
	s_delay_alu instid0(VALU_DEP_2) | instskip(NEXT) | instid1(VALU_DEP_2)
	v_add_f32_e32 v144, v144, v9
	v_dual_add_f32 v141, v146, v141 :: v_dual_mul_f32 v146, 0x3f06c442, v68
	s_delay_alu instid0(VALU_DEP_3) | instskip(NEXT) | instid1(VALU_DEP_3)
	v_dual_add_f32 v143, v147, v143 :: v_dual_mul_f32 v68, 0xbf763a35, v68
	v_add_f32_e32 v144, v144, v3
	s_delay_alu instid0(VALU_DEP_3) | instskip(NEXT) | instid1(VALU_DEP_3)
	v_fma_f32 v147, 0xbf59a7d5, v23, -v146
	v_add_f32_e32 v143, v149, v143
	v_fmac_f32_e32 v146, 0xbf59a7d5, v23
	s_delay_alu instid0(VALU_DEP_3) | instskip(SKIP_2) | instid1(VALU_DEP_2)
	v_add_f32_e32 v142, v147, v142
	v_fma_f32 v147, 0xbe8c1d8e, v58, -v148
	v_fmac_f32_e32 v148, 0xbe8c1d8e, v58
	v_add_f32_e32 v142, v147, v142
	v_fmac_f32_e32 v145, 0xbf7ba420, v22
	v_mul_f32_e32 v147, 0x3eb8f4ab, v74
	s_delay_alu instid0(VALU_DEP_2) | instskip(NEXT) | instid1(VALU_DEP_1)
	v_add_f32_e32 v143, v145, v143
	v_add_f32_e32 v143, v146, v143
	v_fma_f32 v146, 0x3f6eb680, v62, -v64
	v_fmac_f32_e32 v64, 0x3f6eb680, v62
	v_mul_f32_e32 v149, 0x3f65296c, v72
	s_delay_alu instid0(VALU_DEP_2) | instskip(NEXT) | instid1(VALU_DEP_4)
	v_add_f32_e32 v64, v4, v64
	v_dual_add_f32 v4, v4, v146 :: v_dual_mul_f32 v69, 0xbf2c7751, v69
	s_delay_alu instid0(VALU_DEP_3) | instskip(NEXT) | instid1(VALU_DEP_2)
	v_fma_f32 v145, 0x3ee437d1, v63, -v149
	v_fma_f32 v62, 0x3f3d2fb0, v57, -v69
	s_delay_alu instid0(VALU_DEP_2) | instskip(SKIP_1) | instid1(VALU_DEP_3)
	v_add_f32_e32 v142, v145, v142
	v_fma_f32 v145, 0x3f6eb680, v61, -v147
	v_dual_add_f32 v4, v62, v4 :: v_dual_fmac_f32 v69, 0x3f3d2fb0, v57
	v_fma_f32 v57, 0x3ee437d1, v21, -v70
	v_dual_fmac_f32 v70, 0x3ee437d1, v21 :: v_dual_add_f32 v21, v144, v7
	s_delay_alu instid0(VALU_DEP_2) | instskip(NEXT) | instid1(VALU_DEP_4)
	v_dual_add_f32 v4, v57, v4 :: v_dual_mul_f32 v67, 0xbf7ee86f, v67
	v_dual_add_f32 v64, v69, v64 :: v_dual_add_f32 v143, v148, v143
	v_fmac_f32_e32 v149, 0x3ee437d1, v63
	s_delay_alu instid0(VALU_DEP_3) | instskip(NEXT) | instid1(VALU_DEP_3)
	v_fma_f32 v62, 0x3dbcf732, v22, -v67
	v_add_f32_e32 v64, v70, v64
	s_delay_alu instid0(VALU_DEP_2)
	v_dual_add_f32 v4, v62, v4 :: v_dual_fmac_f32 v67, 0x3dbcf732, v22
	v_add_f32_e32 v21, v21, v25
	v_fma_f32 v22, 0xbe8c1d8e, v23, -v68
	v_mul_f32_e32 v57, 0xbf4c4adb, v71
	v_fmac_f32_e32 v68, 0xbe8c1d8e, v23
	v_add_f32_e32 v64, v67, v64
	v_add_f32_e32 v21, v21, v28
	v_mul_f32_e32 v62, 0xbf06c442, v72
	v_add_f32_e32 v4, v22, v4
	v_fma_f32 v23, 0xbf1a4643, v58, -v57
	s_delay_alu instid0(VALU_DEP_4) | instskip(SKIP_2) | instid1(VALU_DEP_4)
	v_dual_add_f32 v64, v68, v64 :: v_dual_add_f32 v21, v21, v26
	v_fmac_f32_e32 v57, 0xbf1a4643, v58
	v_fma_f32 v22, 0xbf59a7d5, v63, -v62
	v_add_f32_e32 v4, v23, v4
	v_mul_f32_e32 v58, 0xbe3c28d5, v74
	v_dual_add_f32 v21, v21, v30 :: v_dual_fmac_f32 v62, 0xbf59a7d5, v63
	v_add_f32_e32 v57, v57, v64
	v_add_f32_e32 v63, v149, v143
	s_delay_alu instid0(VALU_DEP_4)
	v_fma_f32 v23, 0xbf7ba420, v61, -v58
	v_fmac_f32_e32 v58, 0xbf7ba420, v61
	v_dual_fmac_f32 v147, 0x3f6eb680, v61 :: v_dual_add_f32 v4, v22, v4
	v_add_f32_e32 v57, v62, v57
	v_add_f32_e32 v21, v21, v52
	v_add3_u32 v62, 0, v6, v127
	s_delay_alu instid0(VALU_DEP_4) | instskip(NEXT) | instid1(VALU_DEP_3)
	v_dual_add_f32 v61, v145, v142 :: v_dual_add_f32 v4, v23, v4
	v_dual_add_f32 v22, v58, v57 :: v_dual_add_f32 v21, v21, v75
	s_delay_alu instid0(VALU_DEP_3) | instskip(SKIP_1) | instid1(VALU_DEP_3)
	v_dual_add_f32 v58, v147, v63 :: v_dual_add_nc_u32 v57, 0x400, v62
	v_add_nc_u32_e32 v63, 0x800, v62
	v_add_f32_e32 v21, v21, v79
	ds_store_2addr_b32 v57, v21, v22 offset0:220 offset1:227
	ds_store_2addr_b32 v57, v58, v141 offset0:234 offset1:241
	;; [unrolled: 1-line block ×8, first 2 shown]
	ds_store_b32 v62, v4 offset:2352
.LBB0_18:
	s_wait_alu 0xfffe
	s_or_b32 exec_lo, exec_lo, s1
	v_dual_add_f32 v4, v104, v121 :: v_dual_add_f32 v21, v121, v124
	v_dual_sub_f32 v22, v120, v130 :: v_dual_add_f32 v23, v118, v128
	v_sub_f32_e32 v57, v116, v129
	s_delay_alu instid0(VALU_DEP_3) | instskip(SKIP_1) | instid1(VALU_DEP_4)
	v_dual_add_f32 v4, v4, v118 :: v_dual_mul_f32 v61, 0x3f3d2fb0, v21
	v_mul_f32_e32 v64, 0xbe8c1d8e, v21
	v_dual_mul_f32 v68, 0xbf59a7d5, v21 :: v_dual_mul_f32 v73, 0xbf59a7d5, v23
	s_delay_alu instid0(VALU_DEP_3) | instskip(SKIP_1) | instid1(VALU_DEP_3)
	v_dual_add_f32 v4, v4, v113 :: v_dual_mul_f32 v69, 0x3f3d2fb0, v23
	v_dual_mul_f32 v63, 0x3dbcf732, v21 :: v_dual_mul_f32 v70, 0x3dbcf732, v23
	v_fmamk_f32 v130, v22, 0x3f06c442, v68
	s_delay_alu instid0(VALU_DEP_3) | instskip(SKIP_1) | instid1(VALU_DEP_4)
	v_add_f32_e32 v4, v4, v111
	v_mul_f32_e32 v71, 0xbf1a4643, v23
	v_fmamk_f32 v120, v22, 0x3f7ee86f, v63
	v_fmamk_f32 v132, v57, 0x3f7ee86f, v70
	v_fmac_f32_e32 v70, 0xbf7ee86f, v57
	v_add_f32_e32 v4, v4, v105
	v_dual_mul_f32 v67, 0xbf1a4643, v21 :: v_dual_sub_f32 v112, v112, v122
	v_add_f32_e32 v130, v104, v130
	v_sub_f32_e32 v106, v106, v117
	s_delay_alu instid0(VALU_DEP_3) | instskip(SKIP_2) | instid1(VALU_DEP_3)
	v_dual_add_f32 v4, v4, v107 :: v_dual_fmamk_f32 v129, v22, 0x3f4c4adb, v67
	v_fmamk_f32 v116, v22, 0x3f2c7751, v61
	v_fmac_f32_e32 v61, 0xbf2c7751, v22
	v_dual_fmac_f32 v67, 0xbf4c4adb, v22 :: v_dual_add_f32 v4, v4, v93
	v_mul_f32_e32 v62, 0x3ee437d1, v21
	v_fmac_f32_e32 v63, 0xbf7ee86f, v22
	global_wb scope:SCOPE_SE
	s_wait_dscnt 0x0
	s_barrier_signal -1
	v_add_f32_e32 v4, v4, v88
	v_dual_mul_f32 v58, 0x3f6eb680, v21 :: v_dual_add_f32 v63, v104, v63
	v_dual_mul_f32 v21, 0xbf7ba420, v21 :: v_dual_mul_f32 v72, 0xbf7ba420, v23
	s_delay_alu instid0(VALU_DEP_2) | instskip(SKIP_1) | instid1(VALU_DEP_2)
	v_dual_add_f32 v61, v104, v61 :: v_dual_fmamk_f32 v74, v22, 0x3eb8f4ab, v58
	s_barrier_wait -1
	v_fmamk_f32 v131, v22, 0x3e3c28d5, v21
	global_inv scope:SCOPE_SE
	v_add_f32_e32 v4, v4, v91
	v_add_f32_e32 v74, v104, v74
	v_sub_f32_e32 v96, v96, v108
	v_add_f32_e32 v131, v104, v131
	s_delay_alu instid0(VALU_DEP_4) | instskip(SKIP_2) | instid1(VALU_DEP_3)
	v_dual_fmamk_f32 v121, v22, 0x3f763a35, v64 :: v_dual_add_f32 v4, v4, v95
	v_fmac_f32_e32 v58, 0xbeb8f4ab, v22
	v_fmamk_f32 v133, v57, 0x3f4c4adb, v71
	v_dual_fmac_f32 v64, 0xbf763a35, v22 :: v_dual_add_f32 v121, v104, v121
	s_delay_alu instid0(VALU_DEP_4)
	v_add_f32_e32 v4, v4, v110
	v_fmac_f32_e32 v21, 0xbe3c28d5, v22
	v_add_f32_e32 v58, v104, v58
	v_add_f32_e32 v129, v104, v129
	;; [unrolled: 1-line block ×4, first 2 shown]
	v_dual_add_f32 v67, v104, v67 :: v_dual_fmamk_f32 v118, v22, 0x3f65296c, v62
	v_dual_add_f32 v21, v104, v21 :: v_dual_fmac_f32 v62, 0xbf65296c, v22
	v_fmac_f32_e32 v68, 0xbf06c442, v22
	v_fmamk_f32 v22, v57, 0x3f2c7751, v69
	v_fmac_f32_e32 v69, 0xbf2c7751, v57
	v_dual_fmac_f32 v71, 0xbf4c4adb, v57 :: v_dual_add_f32 v118, v104, v118
	v_sub_f32_e32 v92, v92, v94
	s_delay_alu instid0(VALU_DEP_4) | instskip(NEXT) | instid1(VALU_DEP_4)
	v_add_f32_e32 v22, v22, v74
	v_dual_add_f32 v58, v69, v58 :: v_dual_add_f32 v69, v132, v116
	v_add_f32_e32 v62, v104, v62
	v_dual_fmamk_f32 v74, v57, 0x3e3c28d5, v72 :: v_dual_sub_f32 v85, v100, v85
	v_sub_f32_e32 v59, v59, v84
	v_sub_f32_e32 v51, v51, v82
	s_delay_alu instid0(VALU_DEP_4) | instskip(SKIP_4) | instid1(VALU_DEP_4)
	v_add_f32_e32 v62, v71, v62
	v_fmac_f32_e32 v72, 0xbe3c28d5, v57
	v_dual_mul_f32 v71, 0xbe8c1d8e, v23 :: v_dual_sub_f32 v50, v50, v66
	v_sub_f32_e32 v47, v48, v47
	v_sub_f32_e32 v42, v42, v43
	v_add_f32_e32 v63, v72, v63
	v_add_f32_e32 v120, v104, v120
	v_fmamk_f32 v72, v57, 0xbf763a35, v71
	v_dual_fmac_f32 v71, 0x3f763a35, v57 :: v_dual_sub_f32 v38, v38, v40
	s_delay_alu instid0(VALU_DEP_1) | instskip(SKIP_4) | instid1(VALU_DEP_1)
	v_dual_add_f32 v67, v71, v67 :: v_dual_add_f32 v68, v104, v68
	v_add_f32_e32 v71, v113, v123
	v_dual_add_f32 v61, v70, v61 :: v_dual_add_f32 v64, v104, v64
	v_fmamk_f32 v104, v57, 0xbf06c442, v73
	v_fmac_f32_e32 v73, 0x3f06c442, v57
	v_dual_add_f32 v64, v73, v64 :: v_dual_mul_f32 v73, 0x3ee437d1, v23
	v_add_f32_e32 v4, v4, v119
	v_mul_f32_e32 v23, 0x3f6eb680, v23
	s_delay_alu instid0(VALU_DEP_2) | instskip(SKIP_1) | instid1(VALU_DEP_3)
	v_dual_fmamk_f32 v113, v57, 0xbf65296c, v73 :: v_dual_add_f32 v4, v4, v123
	v_fmac_f32_e32 v73, 0x3f65296c, v57
	v_fmamk_f32 v116, v57, 0xbeb8f4ab, v23
	v_fmac_f32_e32 v23, 0x3eb8f4ab, v57
	s_delay_alu instid0(VALU_DEP_4) | instskip(NEXT) | instid1(VALU_DEP_3)
	v_dual_add_f32 v113, v113, v130 :: v_dual_add_f32 v4, v4, v128
	v_dual_add_f32 v57, v73, v68 :: v_dual_add_f32 v68, v116, v131
	v_mul_f32_e32 v116, 0xbf1a4643, v71
	s_delay_alu instid0(VALU_DEP_4) | instskip(SKIP_2) | instid1(VALU_DEP_2)
	v_dual_add_f32 v70, v133, v118 :: v_dual_add_f32 v21, v23, v21
	v_mul_f32_e32 v118, 0x3ee437d1, v71
	v_mul_f32_e32 v23, 0xbf7ba420, v71
	v_fmamk_f32 v73, v112, 0x3f65296c, v118
	s_delay_alu instid0(VALU_DEP_1) | instskip(NEXT) | instid1(VALU_DEP_1)
	v_dual_add_f32 v22, v73, v22 :: v_dual_fmamk_f32 v73, v112, 0x3f4c4adb, v116
	v_dual_add_f32 v4, v4, v124 :: v_dual_add_f32 v69, v73, v69
	v_fmac_f32_e32 v118, 0xbf65296c, v112
	s_delay_alu instid0(VALU_DEP_1) | instskip(SKIP_4) | instid1(VALU_DEP_4)
	v_add_f32_e32 v58, v118, v58
	v_fmamk_f32 v118, v112, 0xbe3c28d5, v23
	v_fmac_f32_e32 v23, 0x3e3c28d5, v112
	v_add_f32_e32 v74, v74, v120
	v_mul_f32_e32 v120, 0xbe8c1d8e, v71
	v_add_f32_e32 v70, v118, v70
	s_delay_alu instid0(VALU_DEP_4) | instskip(NEXT) | instid1(VALU_DEP_3)
	v_dual_add_f32 v23, v23, v62 :: v_dual_fmac_f32 v116, 0xbf4c4adb, v112
	v_fmamk_f32 v73, v112, 0xbf763a35, v120
	v_fmac_f32_e32 v120, 0x3f763a35, v112
	s_delay_alu instid0(VALU_DEP_3) | instskip(SKIP_1) | instid1(VALU_DEP_3)
	v_dual_mul_f32 v62, 0x3f6eb680, v71 :: v_dual_add_f32 v61, v116, v61
	v_mul_f32_e32 v116, 0x3f3d2fb0, v71
	v_add_f32_e32 v63, v120, v63
	s_delay_alu instid0(VALU_DEP_3) | instskip(SKIP_3) | instid1(VALU_DEP_2)
	v_fmamk_f32 v118, v112, 0x3eb8f4ab, v62
	v_mul_f32_e32 v120, 0x3dbcf732, v71
	v_fmac_f32_e32 v62, 0xbeb8f4ab, v112
	v_dual_mul_f32 v71, 0xbf59a7d5, v71 :: v_dual_add_f32 v104, v104, v121
	v_dual_add_f32 v73, v73, v74 :: v_dual_add_f32 v62, v62, v67
	v_add_f32_e32 v67, v111, v119
	s_delay_alu instid0(VALU_DEP_3) | instskip(SKIP_1) | instid1(VALU_DEP_2)
	v_fmamk_f32 v111, v112, 0x3f06c442, v71
	v_add_f32_e32 v72, v72, v129
	v_dual_add_f32 v68, v111, v68 :: v_dual_mul_f32 v111, 0xbf7ba420, v67
	v_fmamk_f32 v74, v112, 0xbf2c7751, v116
	v_fmac_f32_e32 v71, 0xbf06c442, v112
	v_fmac_f32_e32 v116, 0x3f2c7751, v112
	s_delay_alu instid0(VALU_DEP_3) | instskip(SKIP_1) | instid1(VALU_DEP_4)
	v_add_f32_e32 v74, v74, v104
	v_fmamk_f32 v104, v112, 0x3f7ee86f, v120
	v_dual_fmac_f32 v120, 0xbf7ee86f, v112 :: v_dual_add_f32 v21, v71, v21
	s_delay_alu instid0(VALU_DEP_4) | instskip(NEXT) | instid1(VALU_DEP_3)
	v_dual_mul_f32 v71, 0xbe8c1d8e, v67 :: v_dual_add_f32 v64, v116, v64
	v_dual_add_f32 v104, v104, v113 :: v_dual_mul_f32 v113, 0x3dbcf732, v67
	s_delay_alu instid0(VALU_DEP_1) | instskip(SKIP_1) | instid1(VALU_DEP_2)
	v_fmamk_f32 v112, v106, 0x3f7ee86f, v113
	v_fmac_f32_e32 v113, 0xbf7ee86f, v106
	v_add_f32_e32 v22, v112, v22
	s_delay_alu instid0(VALU_DEP_2) | instskip(SKIP_1) | instid1(VALU_DEP_1)
	v_add_f32_e32 v58, v113, v58
	v_fmamk_f32 v112, v106, 0xbf763a35, v71
	v_dual_mul_f32 v113, 0x3f6eb680, v67 :: v_dual_add_f32 v70, v112, v70
	s_delay_alu instid0(VALU_DEP_1) | instskip(SKIP_1) | instid1(VALU_DEP_2)
	v_fmamk_f32 v112, v106, 0xbeb8f4ab, v113
	v_dual_fmac_f32 v113, 0x3eb8f4ab, v106 :: v_dual_add_f32 v72, v118, v72
	v_add_f32_e32 v73, v112, v73
	s_delay_alu instid0(VALU_DEP_2) | instskip(SKIP_1) | instid1(VALU_DEP_2)
	v_dual_add_f32 v63, v113, v63 :: v_dual_fmamk_f32 v116, v106, 0x3e3c28d5, v111
	v_fmac_f32_e32 v111, 0xbe3c28d5, v106
	v_add_f32_e32 v69, v116, v69
	s_delay_alu instid0(VALU_DEP_2) | instskip(SKIP_1) | instid1(VALU_DEP_1)
	v_add_f32_e32 v61, v111, v61
	v_mul_f32_e32 v111, 0x3ee437d1, v67
	v_fmamk_f32 v116, v106, 0x3f65296c, v111
	v_fmac_f32_e32 v111, 0xbf65296c, v106
	s_delay_alu instid0(VALU_DEP_1) | instskip(SKIP_1) | instid1(VALU_DEP_1)
	v_dual_add_f32 v64, v111, v64 :: v_dual_mul_f32 v111, 0xbf1a4643, v67
	v_fmac_f32_e32 v71, 0x3f763a35, v106
	v_add_f32_e32 v23, v71, v23
	v_mul_f32_e32 v71, 0xbf59a7d5, v67
	v_mul_f32_e32 v67, 0x3f3d2fb0, v67
	s_delay_alu instid0(VALU_DEP_2) | instskip(SKIP_1) | instid1(VALU_DEP_1)
	v_fmamk_f32 v112, v106, 0x3f06c442, v71
	v_fmac_f32_e32 v71, 0xbf06c442, v106
	v_dual_add_f32 v62, v71, v62 :: v_dual_add_f32 v71, v105, v115
	v_fmamk_f32 v105, v106, 0xbf4c4adb, v111
	v_sub_f32_e32 v98, v98, v114
	v_fmac_f32_e32 v111, 0x3f4c4adb, v106
	s_delay_alu instid0(VALU_DEP_4)
	v_dual_mul_f32 v113, 0xbe8c1d8e, v71 :: v_dual_add_f32 v74, v116, v74
	v_add_f32_e32 v72, v112, v72
	v_fmamk_f32 v112, v106, 0xbf2c7751, v67
	v_fmac_f32_e32 v67, 0x3f2c7751, v106
	v_mul_f32_e32 v106, 0xbf59a7d5, v71
	v_dual_add_f32 v104, v105, v104 :: v_dual_fmamk_f32 v105, v98, 0x3f763a35, v113
	s_delay_alu instid0(VALU_DEP_3) | instskip(SKIP_2) | instid1(VALU_DEP_4)
	v_add_f32_e32 v21, v67, v21
	v_dual_mul_f32 v67, 0x3f3d2fb0, v71 :: v_dual_add_f32 v68, v112, v68
	v_mul_f32_e32 v112, 0x3ee437d1, v71
	v_dual_add_f32 v22, v105, v22 :: v_dual_fmamk_f32 v105, v98, 0xbf06c442, v106
	s_delay_alu instid0(VALU_DEP_1) | instskip(NEXT) | instid1(VALU_DEP_3)
	v_add_f32_e32 v69, v105, v69
	v_fmamk_f32 v105, v98, 0x3f65296c, v112
	s_delay_alu instid0(VALU_DEP_1) | instskip(SKIP_1) | instid1(VALU_DEP_1)
	v_add_f32_e32 v73, v105, v73
	v_add_f32_e32 v57, v120, v57
	;; [unrolled: 1-line block ×3, first 2 shown]
	v_fmamk_f32 v111, v98, 0xbf2c7751, v67
	v_fmac_f32_e32 v67, 0x3f2c7751, v98
	s_delay_alu instid0(VALU_DEP_1)
	v_add_f32_e32 v23, v67, v23
	v_mul_f32_e32 v67, 0x3dbcf732, v71
	v_fmac_f32_e32 v106, 0x3f06c442, v98
	v_fmac_f32_e32 v113, 0xbf763a35, v98
	v_add_f32_e32 v70, v111, v70
	v_fmac_f32_e32 v112, 0xbf65296c, v98
	v_fmamk_f32 v111, v98, 0xbf7ee86f, v67
	v_dual_add_f32 v61, v106, v61 :: v_dual_mul_f32 v106, 0xbf7ba420, v71
	v_add_f32_e32 v58, v113, v58
	s_delay_alu instid0(VALU_DEP_3) | instskip(SKIP_1) | instid1(VALU_DEP_4)
	v_dual_fmac_f32 v67, 0x3f7ee86f, v98 :: v_dual_add_f32 v72, v111, v72
	v_add_f32_e32 v63, v112, v63
	v_fmamk_f32 v105, v98, 0x3e3c28d5, v106
	v_fmac_f32_e32 v106, 0xbe3c28d5, v98
	s_delay_alu instid0(VALU_DEP_4) | instskip(SKIP_1) | instid1(VALU_DEP_4)
	v_add_f32_e32 v62, v67, v62
	v_add_f32_e32 v67, v107, v110
	v_dual_add_f32 v74, v105, v74 :: v_dual_mul_f32 v105, 0x3f6eb680, v71
	s_delay_alu instid0(VALU_DEP_4) | instskip(NEXT) | instid1(VALU_DEP_2)
	v_dual_add_f32 v64, v106, v64 :: v_dual_mul_f32 v71, 0xbf1a4643, v71
	v_fmamk_f32 v106, v98, 0x3eb8f4ab, v105
	v_fmac_f32_e32 v105, 0xbeb8f4ab, v98
	v_mul_f32_e32 v107, 0xbf1a4643, v67
	s_delay_alu instid0(VALU_DEP_4) | instskip(NEXT) | instid1(VALU_DEP_4)
	v_fmamk_f32 v108, v98, 0x3f4c4adb, v71
	v_dual_fmac_f32 v71, 0xbf4c4adb, v98 :: v_dual_add_f32 v104, v106, v104
	s_delay_alu instid0(VALU_DEP_3) | instskip(NEXT) | instid1(VALU_DEP_3)
	v_dual_add_f32 v57, v105, v57 :: v_dual_fmamk_f32 v98, v96, 0x3f4c4adb, v107
	v_dual_mul_f32 v105, 0xbe8c1d8e, v67 :: v_dual_add_f32 v68, v108, v68
	s_delay_alu instid0(VALU_DEP_3) | instskip(NEXT) | instid1(VALU_DEP_3)
	v_add_f32_e32 v21, v71, v21
	v_dual_fmac_f32 v107, 0xbf4c4adb, v96 :: v_dual_add_f32 v22, v98, v22
	v_mul_f32_e32 v71, 0x3f6eb680, v67
	s_delay_alu instid0(VALU_DEP_4) | instskip(SKIP_1) | instid1(VALU_DEP_3)
	v_fmamk_f32 v98, v96, 0xbf763a35, v105
	v_mul_f32_e32 v106, 0xbf59a7d5, v67
	v_dual_add_f32 v58, v107, v58 :: v_dual_fmamk_f32 v107, v96, 0x3eb8f4ab, v71
	s_delay_alu instid0(VALU_DEP_3) | instskip(SKIP_1) | instid1(VALU_DEP_4)
	v_add_f32_e32 v69, v98, v69
	v_fmac_f32_e32 v71, 0xbeb8f4ab, v96
	v_fmamk_f32 v98, v96, 0x3f06c442, v106
	s_delay_alu instid0(VALU_DEP_4) | instskip(NEXT) | instid1(VALU_DEP_3)
	v_dual_fmac_f32 v105, 0x3f763a35, v96 :: v_dual_add_f32 v70, v107, v70
	v_add_f32_e32 v23, v71, v23
	s_delay_alu instid0(VALU_DEP_3) | instskip(SKIP_1) | instid1(VALU_DEP_4)
	v_add_f32_e32 v71, v98, v73
	v_mul_f32_e32 v73, 0x3f3d2fb0, v67
	v_dual_fmac_f32 v106, 0xbf06c442, v96 :: v_dual_add_f32 v61, v105, v61
	s_delay_alu instid0(VALU_DEP_2) | instskip(SKIP_2) | instid1(VALU_DEP_2)
	v_fmamk_f32 v107, v96, 0x3f2c7751, v73
	v_fmac_f32_e32 v73, 0xbf2c7751, v96
	v_mul_f32_e32 v105, 0x3dbcf732, v67
	v_dual_add_f32 v63, v106, v63 :: v_dual_add_f32 v62, v73, v62
	v_add_f32_e32 v73, v93, v95
	v_mul_f32_e32 v106, 0xbf7ba420, v67
	v_mul_f32_e32 v67, 0x3ee437d1, v67
	s_delay_alu instid0(VALU_DEP_3) | instskip(NEXT) | instid1(VALU_DEP_2)
	v_mul_f32_e32 v94, 0xbf59a7d5, v73
	v_fmamk_f32 v95, v96, 0xbf65296c, v67
	v_fmac_f32_e32 v67, 0x3f65296c, v96
	s_delay_alu instid0(VALU_DEP_2) | instskip(SKIP_1) | instid1(VALU_DEP_3)
	v_add_f32_e32 v68, v95, v68
	v_add_f32_e32 v72, v107, v72
	v_dual_fmamk_f32 v98, v96, 0xbf7ee86f, v105 :: v_dual_add_f32 v21, v67, v21
	s_delay_alu instid0(VALU_DEP_1) | instskip(SKIP_1) | instid1(VALU_DEP_1)
	v_add_f32_e32 v74, v98, v74
	v_fmamk_f32 v98, v96, 0x3e3c28d5, v106
	v_dual_add_f32 v93, v98, v104 :: v_dual_fmamk_f32 v98, v92, 0x3f06c442, v94
	v_fmac_f32_e32 v105, 0x3f7ee86f, v96
	v_fmac_f32_e32 v94, 0xbf06c442, v92
	s_delay_alu instid0(VALU_DEP_3) | instskip(NEXT) | instid1(VALU_DEP_3)
	v_add_f32_e32 v22, v98, v22
	v_dual_add_f32 v64, v105, v64 :: v_dual_mul_f32 v95, 0x3dbcf732, v73
	s_delay_alu instid0(VALU_DEP_3) | instskip(NEXT) | instid1(VALU_DEP_2)
	v_add_f32_e32 v58, v94, v58
	v_fmamk_f32 v94, v92, 0x3f7ee86f, v95
	s_delay_alu instid0(VALU_DEP_1) | instskip(NEXT) | instid1(VALU_DEP_1)
	v_dual_fmac_f32 v95, 0xbf7ee86f, v92 :: v_dual_add_f32 v70, v94, v70
	v_add_f32_e32 v95, v95, v23
	v_mul_f32_e32 v23, 0xbf7ba420, v73
	v_fmac_f32_e32 v106, 0xbe3c28d5, v96
	v_mul_f32_e32 v96, 0x3ee437d1, v73
	s_delay_alu instid0(VALU_DEP_1) | instskip(NEXT) | instid1(VALU_DEP_1)
	v_fmamk_f32 v67, v92, 0xbf65296c, v96
	v_dual_fmac_f32 v96, 0x3f65296c, v92 :: v_dual_add_f32 v67, v67, v69
	v_mul_f32_e32 v69, 0xbf1a4643, v73
	s_delay_alu instid0(VALU_DEP_2) | instskip(SKIP_1) | instid1(VALU_DEP_3)
	v_add_f32_e32 v61, v96, v61
	v_mul_f32_e32 v96, 0x3f6eb680, v73
	v_fmamk_f32 v98, v92, 0xbf4c4adb, v69
	v_fmac_f32_e32 v69, 0x3f4c4adb, v92
	s_delay_alu instid0(VALU_DEP_2) | instskip(NEXT) | instid1(VALU_DEP_2)
	v_dual_fmamk_f32 v94, v92, 0x3eb8f4ab, v96 :: v_dual_add_f32 v71, v98, v71
	v_dual_fmac_f32 v96, 0xbeb8f4ab, v92 :: v_dual_add_f32 v63, v69, v63
	s_delay_alu instid0(VALU_DEP_2) | instskip(SKIP_1) | instid1(VALU_DEP_3)
	v_add_f32_e32 v69, v94, v74
	v_add_f32_e32 v98, v2, v99
	;; [unrolled: 1-line block ×3, first 2 shown]
	v_fmamk_f32 v94, v92, 0x3e3c28d5, v23
	v_fmac_f32_e32 v23, 0xbe3c28d5, v92
	s_delay_alu instid0(VALU_DEP_2) | instskip(SKIP_4) | instid1(VALU_DEP_3)
	v_add_f32_e32 v72, v94, v72
	v_add_f32_e32 v94, v98, v97
	;; [unrolled: 1-line block ×3, first 2 shown]
	v_mul_f32_e32 v74, 0x3f3d2fb0, v73
	v_dual_add_f32 v62, v23, v62 :: v_dual_mul_f32 v23, 0xbe8c1d8e, v73
	v_dual_add_f32 v73, v94, v60 :: v_dual_mul_f32 v88, 0xbf7ba420, v98
	s_delay_alu instid0(VALU_DEP_3) | instskip(SKIP_2) | instid1(VALU_DEP_4)
	v_fmamk_f32 v104, v92, 0xbf2c7751, v74
	v_fmac_f32_e32 v74, 0x3f2c7751, v92
	v_add_f32_e32 v60, v60, v65
	v_add_f32_e32 v73, v73, v49
	s_delay_alu instid0(VALU_DEP_4) | instskip(SKIP_1) | instid1(VALU_DEP_3)
	v_dual_add_f32 v49, v49, v83 :: v_dual_add_f32 v96, v104, v93
	v_sub_f32_e32 v104, v89, v90
	v_dual_mul_f32 v84, 0x3ee437d1, v60 :: v_dual_add_f32 v73, v73, v54
	v_add_f32_e32 v57, v106, v57
	s_delay_alu instid0(VALU_DEP_4) | instskip(SKIP_1) | instid1(VALU_DEP_4)
	v_mul_f32_e32 v82, 0x3dbcf732, v49
	v_add_f32_e32 v54, v54, v81
	v_add_f32_e32 v73, v73, v45
	s_delay_alu instid0(VALU_DEP_4)
	v_dual_add_f32 v57, v74, v57 :: v_dual_fmamk_f32 v74, v104, 0x3e3c28d5, v88
	v_fmamk_f32 v89, v92, 0x3f763a35, v23
	v_fmac_f32_e32 v23, 0xbf763a35, v92
	v_fmac_f32_e32 v88, 0xbe3c28d5, v104
	v_mul_f32_e32 v66, 0xbe8c1d8e, v54
	v_add_f32_e32 v22, v74, v22
	s_delay_alu instid0(VALU_DEP_4) | instskip(SKIP_3) | instid1(VALU_DEP_3)
	v_dual_add_f32 v68, v89, v68 :: v_dual_add_f32 v105, v23, v21
	v_mul_f32_e32 v23, 0x3f6eb680, v98
	v_dual_add_f32 v21, v88, v58 :: v_dual_add_f32 v58, v73, v44
	v_mul_f32_e32 v89, 0xbf59a7d5, v98
	v_dual_add_f32 v45, v45, v56 :: v_dual_fmamk_f32 v74, v104, 0xbeb8f4ab, v23
	v_dual_fmac_f32 v23, 0x3eb8f4ab, v104 :: v_dual_add_f32 v44, v44, v46
	s_delay_alu instid0(VALU_DEP_3) | instskip(NEXT) | instid1(VALU_DEP_3)
	v_fmamk_f32 v73, v104, 0x3f06c442, v89
	v_dual_fmac_f32 v89, 0xbf06c442, v104 :: v_dual_add_f32 v74, v74, v67
	v_dual_mul_f32 v67, 0xbf1a4643, v98 :: v_dual_add_f32 v58, v58, v41
	s_delay_alu instid0(VALU_DEP_4) | instskip(SKIP_1) | instid1(VALU_DEP_3)
	v_add_f32_e32 v23, v23, v61
	v_mul_f32_e32 v61, 0x3f3d2fb0, v98
	v_dual_add_f32 v88, v73, v70 :: v_dual_fmamk_f32 v73, v104, 0x3f4c4adb, v67
	s_delay_alu instid0(VALU_DEP_4) | instskip(NEXT) | instid1(VALU_DEP_3)
	v_dual_add_f32 v58, v58, v39 :: v_dual_fmac_f32 v67, 0xbf4c4adb, v104
	v_fmamk_f32 v70, v104, 0xbf2c7751, v61
	s_delay_alu instid0(VALU_DEP_3) | instskip(NEXT) | instid1(VALU_DEP_3)
	v_dual_fmac_f32 v61, 0x3f2c7751, v104 :: v_dual_add_f32 v92, v73, v69
	v_dual_add_f32 v58, v58, v46 :: v_dual_add_f32 v93, v67, v64
	v_add_f32_e32 v89, v89, v95
	s_delay_alu instid0(VALU_DEP_3) | instskip(NEXT) | instid1(VALU_DEP_3)
	v_dual_add_f32 v90, v61, v63 :: v_dual_mul_f32 v61, 0x3ee437d1, v98
	v_dual_add_f32 v58, v58, v56 :: v_dual_mul_f32 v63, 0xbe8c1d8e, v98
	v_dual_sub_f32 v67, v103, v86 :: v_dual_mul_f32 v48, 0xbf1a4643, v45
	s_delay_alu instid0(VALU_DEP_3) | instskip(NEXT) | instid1(VALU_DEP_3)
	v_fmamk_f32 v69, v104, 0xbf65296c, v61
	v_dual_fmac_f32 v61, 0x3f65296c, v104 :: v_dual_add_f32 v58, v58, v81
	s_delay_alu instid0(VALU_DEP_4) | instskip(SKIP_1) | instid1(VALU_DEP_4)
	v_fmamk_f32 v64, v104, 0x3f763a35, v63
	v_fmac_f32_e32 v63, 0xbf763a35, v104
	v_add_f32_e32 v95, v69, v72
	s_delay_alu instid0(VALU_DEP_4) | instskip(SKIP_4) | instid1(VALU_DEP_4)
	v_add_f32_e32 v94, v61, v62
	v_dual_mul_f32 v61, 0x3dbcf732, v98 :: v_dual_add_f32 v58, v58, v83
	v_add_f32_e32 v62, v99, v87
	v_add_f32_e32 v96, v64, v96
	v_mul_f32_e32 v43, 0xbf59a7d5, v44
	v_fmamk_f32 v64, v104, 0xbf7ee86f, v61
	v_dual_add_f32 v58, v58, v65 :: v_dual_fmac_f32 v61, 0x3f7ee86f, v104
	v_dual_mul_f32 v69, 0x3f6eb680, v62 :: v_dual_add_f32 v86, v63, v57
	s_delay_alu instid0(VALU_DEP_3) | instskip(NEXT) | instid1(VALU_DEP_3)
	v_add_f32_e32 v98, v64, v68
	v_dual_mul_f32 v104, 0xbf59a7d5, v62 :: v_dual_add_f32 v99, v61, v105
	v_mul_f32_e32 v61, 0x3f3d2fb0, v62
	v_dual_add_f32 v57, v58, v55 :: v_dual_mul_f32 v72, 0xbf1a4643, v62
	v_add_f32_e32 v55, v97, v55
	v_add_f32_e32 v39, v41, v39
	s_delay_alu instid0(VALU_DEP_4) | instskip(NEXT) | instid1(VALU_DEP_4)
	v_fmamk_f32 v63, v67, 0x3f2c7751, v61
	v_add_f32_e32 v87, v57, v87
	v_mul_f32_e32 v57, 0x3ee437d1, v62
	s_delay_alu instid0(VALU_DEP_1) | instskip(SKIP_1) | instid1(VALU_DEP_2)
	v_fmamk_f32 v68, v67, 0x3f65296c, v57
	v_fmac_f32_e32 v61, 0xbf2c7751, v67
	v_dual_fmac_f32 v57, 0xbf65296c, v67 :: v_dual_add_f32 v68, v2, v68
	v_fmamk_f32 v105, v67, 0x3f06c442, v104
	s_delay_alu instid0(VALU_DEP_3) | instskip(SKIP_1) | instid1(VALU_DEP_4)
	v_add_f32_e32 v61, v2, v61
	v_add_f32_e32 v91, v70, v71
	v_dual_mul_f32 v100, 0x3f3d2fb0, v55 :: v_dual_add_f32 v57, v2, v57
	s_delay_alu instid0(VALU_DEP_4) | instskip(SKIP_1) | instid1(VALU_DEP_3)
	v_dual_add_f32 v97, v2, v105 :: v_dual_fmac_f32 v104, 0xbf06c442, v67
	v_mul_f32_e32 v71, 0xbe8c1d8e, v62
	v_fmamk_f32 v106, v85, 0x3f2c7751, v100
	v_fmac_f32_e32 v100, 0xbf2c7751, v85
	s_delay_alu instid0(VALU_DEP_3) | instskip(SKIP_2) | instid1(VALU_DEP_3)
	v_dual_add_f32 v104, v2, v104 :: v_dual_fmamk_f32 v73, v67, 0x3f763a35, v71
	v_fmamk_f32 v58, v67, 0x3eb8f4ab, v69
	v_fmac_f32_e32 v69, 0xbeb8f4ab, v67
	v_add_f32_e32 v73, v2, v73
	s_delay_alu instid0(VALU_DEP_3) | instskip(NEXT) | instid1(VALU_DEP_3)
	v_add_f32_e32 v58, v2, v58
	v_add_f32_e32 v64, v2, v69
	;; [unrolled: 1-line block ×3, first 2 shown]
	v_fmamk_f32 v103, v67, 0x3f4c4adb, v72
	v_fmac_f32_e32 v72, 0xbf4c4adb, v67
	v_mul_f32_e32 v69, 0x3dbcf732, v62
	v_mul_f32_e32 v62, 0xbf7ba420, v62
	s_delay_alu instid0(VALU_DEP_4) | instskip(NEXT) | instid1(VALU_DEP_4)
	v_dual_add_f32 v64, v100, v64 :: v_dual_add_f32 v103, v2, v103
	v_add_f32_e32 v72, v2, v72
	s_delay_alu instid0(VALU_DEP_4) | instskip(SKIP_3) | instid1(VALU_DEP_4)
	v_fmamk_f32 v70, v67, 0x3f7ee86f, v69
	v_fmac_f32_e32 v69, 0xbf7ee86f, v67
	v_fmamk_f32 v105, v67, 0x3e3c28d5, v62
	v_dual_fmac_f32 v71, 0xbf763a35, v67 :: v_dual_add_f32 v58, v106, v58
	v_add_f32_e32 v70, v2, v70
	s_delay_alu instid0(VALU_DEP_4) | instskip(NEXT) | instid1(VALU_DEP_4)
	v_dual_add_f32 v69, v2, v69 :: v_dual_fmac_f32 v62, 0xbe3c28d5, v67
	v_add_f32_e32 v67, v2, v105
	v_mul_f32_e32 v105, 0x3dbcf732, v55
	v_mul_f32_e32 v106, 0xbf7ba420, v55
	v_add_f32_e32 v71, v2, v71
	s_delay_alu instid0(VALU_DEP_3) | instskip(SKIP_1) | instid1(VALU_DEP_2)
	v_fmamk_f32 v107, v85, 0x3f7ee86f, v105
	v_fmac_f32_e32 v105, 0xbf7ee86f, v85
	v_add_f32_e32 v63, v107, v63
	s_delay_alu instid0(VALU_DEP_2) | instskip(SKIP_2) | instid1(VALU_DEP_1)
	v_add_f32_e32 v61, v105, v61
	v_fmamk_f32 v105, v85, 0x3e3c28d5, v106
	v_fmac_f32_e32 v106, 0xbe3c28d5, v85
	v_dual_add_f32 v70, v105, v70 :: v_dual_add_f32 v69, v106, v69
	v_add_f32_e32 v2, v2, v62
	v_mul_f32_e32 v62, 0xbf1a4643, v55
	s_delay_alu instid0(VALU_DEP_1) | instskip(NEXT) | instid1(VALU_DEP_1)
	v_fmamk_f32 v100, v85, 0x3f4c4adb, v62
	v_add_f32_e32 v68, v100, v68
	v_mul_f32_e32 v100, 0xbf59a7d5, v55
	s_delay_alu instid0(VALU_DEP_1) | instskip(SKIP_1) | instid1(VALU_DEP_2)
	v_fmamk_f32 v107, v85, 0xbf06c442, v100
	v_fmac_f32_e32 v100, 0x3f06c442, v85
	v_add_f32_e32 v73, v107, v73
	s_delay_alu instid0(VALU_DEP_2) | instskip(NEXT) | instid1(VALU_DEP_1)
	v_dual_fmac_f32 v62, 0xbf4c4adb, v85 :: v_dual_add_f32 v71, v100, v71
	v_dual_mul_f32 v100, 0x3ee437d1, v55 :: v_dual_add_f32 v57, v62, v57
	v_mul_f32_e32 v62, 0xbe8c1d8e, v55
	v_mul_f32_e32 v55, 0x3f6eb680, v55
	s_delay_alu instid0(VALU_DEP_3) | instskip(NEXT) | instid1(VALU_DEP_3)
	v_fmamk_f32 v65, v85, 0xbf65296c, v100
	v_fmamk_f32 v105, v85, 0xbf763a35, v62
	v_fmac_f32_e32 v62, 0x3f763a35, v85
	s_delay_alu instid0(VALU_DEP_3) | instskip(SKIP_1) | instid1(VALU_DEP_3)
	v_add_f32_e32 v65, v65, v97
	v_mul_f32_e32 v97, 0xbf1a4643, v60
	v_add_f32_e32 v62, v62, v72
	v_fmamk_f32 v72, v85, 0xbeb8f4ab, v55
	v_fmac_f32_e32 v55, 0x3eb8f4ab, v85
	s_delay_alu instid0(VALU_DEP_2) | instskip(NEXT) | instid1(VALU_DEP_2)
	v_dual_add_f32 v67, v72, v67 :: v_dual_fmamk_f32 v72, v59, 0x3f65296c, v84
	v_add_f32_e32 v2, v55, v2
	v_fmac_f32_e32 v84, 0xbf65296c, v59
	s_delay_alu instid0(VALU_DEP_3) | instskip(NEXT) | instid1(VALU_DEP_2)
	v_dual_add_f32 v58, v72, v58 :: v_dual_mul_f32 v55, 0xbf7ba420, v60
	v_add_f32_e32 v64, v84, v64
	v_fmamk_f32 v72, v59, 0x3f4c4adb, v97
	v_fmac_f32_e32 v97, 0xbf4c4adb, v59
	s_delay_alu instid0(VALU_DEP_4) | instskip(SKIP_1) | instid1(VALU_DEP_4)
	v_fmamk_f32 v84, v59, 0xbe3c28d5, v55
	v_fmac_f32_e32 v55, 0x3e3c28d5, v59
	v_add_f32_e32 v63, v72, v63
	s_delay_alu instid0(VALU_DEP_3) | instskip(NEXT) | instid1(VALU_DEP_3)
	v_dual_add_f32 v61, v97, v61 :: v_dual_add_f32 v68, v84, v68
	v_add_f32_e32 v55, v55, v57
	v_mul_f32_e32 v57, 0x3f6eb680, v60
	v_mul_f32_e32 v84, 0x3f3d2fb0, v60
	s_delay_alu instid0(VALU_DEP_2) | instskip(SKIP_1) | instid1(VALU_DEP_1)
	v_fmamk_f32 v97, v59, 0x3eb8f4ab, v57
	v_fmac_f32_e32 v57, 0xbeb8f4ab, v59
	v_dual_add_f32 v57, v57, v62 :: v_dual_fmac_f32 v100, 0x3f65296c, v85
	s_delay_alu instid0(VALU_DEP_1) | instskip(SKIP_1) | instid1(VALU_DEP_1)
	v_add_f32_e32 v85, v100, v104
	v_mul_f32_e32 v100, 0xbe8c1d8e, v60
	v_fmamk_f32 v72, v59, 0xbf763a35, v100
	v_fmac_f32_e32 v100, 0x3f763a35, v59
	s_delay_alu instid0(VALU_DEP_2) | instskip(NEXT) | instid1(VALU_DEP_2)
	v_add_f32_e32 v70, v72, v70
	v_dual_add_f32 v69, v100, v69 :: v_dual_fmamk_f32 v72, v59, 0xbf2c7751, v84
	v_fmac_f32_e32 v84, 0x3f2c7751, v59
	v_add_f32_e32 v103, v105, v103
	s_delay_alu instid0(VALU_DEP_2) | instskip(NEXT) | instid1(VALU_DEP_1)
	v_dual_add_f32 v71, v84, v71 :: v_dual_mul_f32 v100, 0x3dbcf732, v60
	v_fmamk_f32 v84, v59, 0x3f7ee86f, v100
	v_fmac_f32_e32 v100, 0xbf7ee86f, v59
	s_delay_alu instid0(VALU_DEP_2) | instskip(NEXT) | instid1(VALU_DEP_2)
	v_add_f32_e32 v62, v84, v65
	v_dual_add_f32 v83, v100, v85 :: v_dual_mul_f32 v60, 0xbf59a7d5, v60
	s_delay_alu instid0(VALU_DEP_1) | instskip(SKIP_1) | instid1(VALU_DEP_2)
	v_fmamk_f32 v65, v59, 0x3f06c442, v60
	v_fmac_f32_e32 v60, 0xbf06c442, v59
	v_add_f32_e32 v59, v65, v67
	v_mul_f32_e32 v65, 0xbf7ba420, v49
	s_delay_alu instid0(VALU_DEP_3) | instskip(SKIP_2) | instid1(VALU_DEP_4)
	v_dual_fmamk_f32 v67, v51, 0x3f7ee86f, v82 :: v_dual_add_f32 v2, v60, v2
	v_mul_f32_e32 v60, 0xbe8c1d8e, v49
	v_fmac_f32_e32 v82, 0xbf7ee86f, v51
	v_fmamk_f32 v84, v51, 0x3e3c28d5, v65
	s_delay_alu instid0(VALU_DEP_4) | instskip(NEXT) | instid1(VALU_DEP_3)
	v_dual_add_f32 v58, v67, v58 :: v_dual_fmac_f32 v65, 0xbe3c28d5, v51
	v_dual_fmamk_f32 v67, v51, 0xbf763a35, v60 :: v_dual_add_f32 v64, v82, v64
	v_mul_f32_e32 v82, 0x3f6eb680, v49
	s_delay_alu instid0(VALU_DEP_3) | instskip(NEXT) | instid1(VALU_DEP_3)
	v_dual_fmac_f32 v60, 0x3f763a35, v51 :: v_dual_add_f32 v61, v65, v61
	v_add_f32_e32 v65, v67, v68
	v_mul_f32_e32 v67, 0x3ee437d1, v49
	s_delay_alu instid0(VALU_DEP_4) | instskip(NEXT) | instid1(VALU_DEP_4)
	v_dual_add_f32 v63, v84, v63 :: v_dual_fmamk_f32 v68, v51, 0xbeb8f4ab, v82
	v_dual_add_f32 v55, v60, v55 :: v_dual_mul_f32 v60, 0xbf59a7d5, v49
	s_delay_alu instid0(VALU_DEP_3) | instskip(NEXT) | instid1(VALU_DEP_3)
	v_fmamk_f32 v84, v51, 0x3f65296c, v67
	v_dual_fmac_f32 v67, 0xbf65296c, v51 :: v_dual_add_f32 v68, v68, v70
	v_fmac_f32_e32 v82, 0x3eb8f4ab, v51
	s_delay_alu instid0(VALU_DEP_4) | instskip(SKIP_1) | instid1(VALU_DEP_4)
	v_fmamk_f32 v70, v51, 0x3f06c442, v60
	v_fmac_f32_e32 v60, 0xbf06c442, v51
	v_add_f32_e32 v67, v67, v71
	v_mul_f32_e32 v71, 0xbf1a4643, v49
	v_add_f32_e32 v69, v82, v69
	v_add_f32_e32 v72, v72, v73
	;; [unrolled: 1-line block ×3, first 2 shown]
	s_delay_alu instid0(VALU_DEP_4) | instskip(NEXT) | instid1(VALU_DEP_3)
	v_dual_add_f32 v73, v97, v103 :: v_dual_fmamk_f32 v60, v51, 0xbf4c4adb, v71
	v_dual_mul_f32 v49, 0x3f3d2fb0, v49 :: v_dual_add_f32 v72, v84, v72
	s_delay_alu instid0(VALU_DEP_2) | instskip(NEXT) | instid1(VALU_DEP_3)
	v_add_f32_e32 v70, v70, v73
	v_add_f32_e32 v60, v60, v62
	v_fmamk_f32 v62, v50, 0x3f763a35, v66
	v_fmac_f32_e32 v66, 0xbf763a35, v50
	v_fmamk_f32 v73, v51, 0xbf2c7751, v49
	s_delay_alu instid0(VALU_DEP_3) | instskip(NEXT) | instid1(VALU_DEP_3)
	v_dual_fmac_f32 v49, 0x3f2c7751, v51 :: v_dual_add_f32 v58, v62, v58
	v_dual_add_f32 v64, v66, v64 :: v_dual_fmac_f32 v71, 0x3f4c4adb, v51
	s_delay_alu instid0(VALU_DEP_3) | instskip(NEXT) | instid1(VALU_DEP_3)
	v_add_f32_e32 v59, v73, v59
	v_add_f32_e32 v2, v49, v2
	v_mul_f32_e32 v49, 0x3f3d2fb0, v54
	v_mul_f32_e32 v73, 0x3ee437d1, v54
	v_add_f32_e32 v51, v71, v83
	v_mul_f32_e32 v71, 0xbf59a7d5, v54
	s_delay_alu instid0(VALU_DEP_4) | instskip(NEXT) | instid1(VALU_DEP_2)
	v_fmamk_f32 v66, v50, 0xbf2c7751, v49
	v_fmamk_f32 v62, v50, 0xbf06c442, v71
	s_delay_alu instid0(VALU_DEP_1) | instskip(NEXT) | instid1(VALU_DEP_3)
	v_dual_fmac_f32 v71, 0x3f06c442, v50 :: v_dual_add_f32 v62, v62, v63
	v_add_f32_e32 v63, v66, v65
	v_fmamk_f32 v65, v50, 0x3f65296c, v73
	v_fmac_f32_e32 v73, 0xbf65296c, v50
	s_delay_alu instid0(VALU_DEP_4) | instskip(NEXT) | instid1(VALU_DEP_3)
	v_add_f32_e32 v61, v71, v61
	v_add_f32_e32 v65, v65, v68
	s_delay_alu instid0(VALU_DEP_3) | instskip(SKIP_2) | instid1(VALU_DEP_2)
	v_add_f32_e32 v69, v73, v69
	v_fmac_f32_e32 v49, 0x3f2c7751, v50
	v_mul_f32_e32 v73, 0x3f6eb680, v54
	v_add_f32_e32 v49, v49, v55
	v_mul_f32_e32 v55, 0x3dbcf732, v54
	v_mul_f32_e32 v66, 0xbf7ba420, v54
	;; [unrolled: 1-line block ×3, first 2 shown]
	s_delay_alu instid0(VALU_DEP_3) | instskip(SKIP_1) | instid1(VALU_DEP_4)
	v_fmamk_f32 v71, v50, 0xbf7ee86f, v55
	v_fmac_f32_e32 v55, 0x3f7ee86f, v50
	v_fmamk_f32 v68, v50, 0x3e3c28d5, v66
	s_delay_alu instid0(VALU_DEP_2) | instskip(SKIP_2) | instid1(VALU_DEP_3)
	v_dual_fmac_f32 v66, 0xbe3c28d5, v50 :: v_dual_add_f32 v55, v55, v57
	v_fmamk_f32 v57, v50, 0x3f4c4adb, v54
	v_fmac_f32_e32 v54, 0xbf4c4adb, v50
	v_dual_add_f32 v66, v66, v67 :: v_dual_add_f32 v67, v71, v70
	s_delay_alu instid0(VALU_DEP_2)
	v_add_f32_e32 v2, v54, v2
	v_mul_f32_e32 v54, 0x3f6eb680, v45
	v_fmamk_f32 v70, v50, 0x3eb8f4ab, v73
	v_dual_fmac_f32 v73, 0xbeb8f4ab, v50 :: v_dual_add_f32 v50, v57, v59
	v_mul_f32_e32 v57, 0xbe8c1d8e, v45
	v_fmamk_f32 v59, v47, 0x3f4c4adb, v48
	s_delay_alu instid0(VALU_DEP_1) | instskip(SKIP_1) | instid1(VALU_DEP_4)
	v_add_f32_e32 v58, v59, v58
	v_dual_fmamk_f32 v59, v47, 0x3eb8f4ab, v54 :: v_dual_add_f32 v56, v70, v60
	v_fmamk_f32 v60, v47, 0xbf763a35, v57
	v_fmac_f32_e32 v54, 0xbeb8f4ab, v47
	v_add_f32_e32 v51, v73, v51
	s_delay_alu instid0(VALU_DEP_4) | instskip(NEXT) | instid1(VALU_DEP_4)
	v_dual_add_f32 v59, v59, v63 :: v_dual_add_nc_u32 v70, 0x400, v126
	v_add_f32_e32 v60, v60, v62
	v_mul_f32_e32 v62, 0xbf59a7d5, v45
	v_add_f32_e32 v49, v54, v49
	v_mul_f32_e32 v54, 0x3f3d2fb0, v45
	v_fmac_f32_e32 v48, 0xbf4c4adb, v47
	s_delay_alu instid0(VALU_DEP_4) | instskip(SKIP_1) | instid1(VALU_DEP_2)
	v_fmamk_f32 v63, v47, 0x3f06c442, v62
	v_fmac_f32_e32 v62, 0xbf06c442, v47
	v_dual_add_f32 v48, v48, v64 :: v_dual_add_f32 v63, v63, v65
	v_fmamk_f32 v65, v47, 0x3f2c7751, v54
	v_fmac_f32_e32 v54, 0xbf2c7751, v47
	s_delay_alu instid0(VALU_DEP_2) | instskip(NEXT) | instid1(VALU_DEP_2)
	v_add_f32_e32 v65, v65, v67
	v_add_f32_e32 v54, v54, v55
	v_fmac_f32_e32 v57, 0x3f763a35, v47
	s_delay_alu instid0(VALU_DEP_1) | instskip(SKIP_1) | instid1(VALU_DEP_1)
	v_add_f32_e32 v57, v57, v61
	v_mul_f32_e32 v61, 0x3dbcf732, v45
	v_fmamk_f32 v64, v47, 0xbf7ee86f, v61
	v_fmac_f32_e32 v61, 0x3f7ee86f, v47
	s_delay_alu instid0(VALU_DEP_1) | instskip(SKIP_2) | instid1(VALU_DEP_3)
	v_dual_add_f32 v61, v61, v66 :: v_dual_mul_f32 v66, 0xbf7ba420, v45
	v_dual_mul_f32 v45, 0x3ee437d1, v45 :: v_dual_add_f32 v68, v68, v72
	v_add_nc_u32_e32 v72, 0x800, v126
	v_fmamk_f32 v46, v47, 0x3e3c28d5, v66
	v_fmac_f32_e32 v66, 0xbe3c28d5, v47
	s_delay_alu instid0(VALU_DEP_4) | instskip(NEXT) | instid1(VALU_DEP_3)
	v_fmamk_f32 v55, v47, 0xbf65296c, v45
	v_dual_fmac_f32 v45, 0x3f65296c, v47 :: v_dual_add_f32 v46, v46, v56
	s_delay_alu instid0(VALU_DEP_2) | instskip(NEXT) | instid1(VALU_DEP_2)
	v_dual_add_f32 v47, v66, v51 :: v_dual_add_f32 v50, v55, v50
	v_dual_add_f32 v2, v45, v2 :: v_dual_fmamk_f32 v51, v42, 0x3f06c442, v43
	v_fmac_f32_e32 v43, 0xbf06c442, v42
	v_dual_mul_f32 v55, 0x3ee437d1, v44 :: v_dual_add_f32 v62, v62, v69
	s_delay_alu instid0(VALU_DEP_3) | instskip(SKIP_1) | instid1(VALU_DEP_3)
	v_add_f32_e32 v51, v51, v58
	v_mul_f32_e32 v45, 0x3dbcf732, v44
	v_dual_add_f32 v43, v43, v48 :: v_dual_fmamk_f32 v56, v42, 0xbf65296c, v55
	v_mul_f32_e32 v58, 0xbf1a4643, v44
	s_delay_alu instid0(VALU_DEP_3) | instskip(NEXT) | instid1(VALU_DEP_3)
	v_fmamk_f32 v48, v42, 0x3f7ee86f, v45
	v_dual_add_f32 v56, v56, v60 :: v_dual_fmac_f32 v55, 0x3f65296c, v42
	s_delay_alu instid0(VALU_DEP_2) | instskip(NEXT) | instid1(VALU_DEP_1)
	v_dual_add_f32 v48, v48, v59 :: v_dual_mul_f32 v59, 0x3f6eb680, v44
	v_dual_add_f32 v55, v55, v57 :: v_dual_fmamk_f32 v60, v42, 0x3eb8f4ab, v59
	v_fmac_f32_e32 v59, 0xbeb8f4ab, v42
	s_delay_alu instid0(VALU_DEP_1) | instskip(SKIP_1) | instid1(VALU_DEP_1)
	v_add_f32_e32 v59, v59, v61
	v_fmac_f32_e32 v45, 0xbf7ee86f, v42
	v_add_f32_e32 v45, v45, v49
	v_fmamk_f32 v57, v42, 0xbf4c4adb, v58
	v_fmac_f32_e32 v58, 0x3f4c4adb, v42
	v_mul_f32_e32 v49, 0xbf7ba420, v44
	s_delay_alu instid0(VALU_DEP_2) | instskip(NEXT) | instid1(VALU_DEP_2)
	v_dual_add_f32 v57, v57, v63 :: v_dual_add_f32 v58, v58, v62
	v_fmamk_f32 v62, v42, 0x3e3c28d5, v49
	v_mul_f32_e32 v63, 0x3f3d2fb0, v44
	v_mul_f32_e32 v44, 0xbe8c1d8e, v44
	v_fmac_f32_e32 v49, 0xbe3c28d5, v42
	s_delay_alu instid0(VALU_DEP_4) | instskip(NEXT) | instid1(VALU_DEP_4)
	v_dual_mul_f32 v40, 0xbf7ba420, v39 :: v_dual_add_f32 v61, v62, v65
	v_fmamk_f32 v62, v42, 0xbf2c7751, v63
	s_delay_alu instid0(VALU_DEP_3) | instskip(SKIP_1) | instid1(VALU_DEP_3)
	v_dual_add_f32 v64, v64, v68 :: v_dual_add_f32 v49, v49, v54
	v_fmac_f32_e32 v63, 0x3f2c7751, v42
	v_add_f32_e32 v41, v62, v46
	v_fmamk_f32 v46, v42, 0x3f763a35, v44
	v_fmac_f32_e32 v44, 0xbf763a35, v42
	s_delay_alu instid0(VALU_DEP_2) | instskip(SKIP_2) | instid1(VALU_DEP_4)
	v_add_f32_e32 v42, v46, v50
	v_fmamk_f32 v50, v38, 0x3e3c28d5, v40
	v_fmac_f32_e32 v40, 0xbe3c28d5, v38
	v_add_f32_e32 v2, v44, v2
	v_mul_f32_e32 v44, 0xbf59a7d5, v39
	v_mul_f32_e32 v46, 0x3f6eb680, v39
	v_add_f32_e32 v82, v50, v51
	s_delay_alu instid0(VALU_DEP_3) | instskip(SKIP_1) | instid1(VALU_DEP_4)
	v_dual_add_f32 v83, v40, v43 :: v_dual_fmamk_f32 v40, v38, 0x3f06c442, v44
	v_fmac_f32_e32 v44, 0xbf06c442, v38
	v_fmamk_f32 v54, v38, 0xbeb8f4ab, v46
	s_delay_alu instid0(VALU_DEP_3) | instskip(SKIP_2) | instid1(VALU_DEP_3)
	v_dual_fmac_f32 v46, 0x3eb8f4ab, v38 :: v_dual_add_f32 v97, v40, v48
	v_mul_f32_e32 v40, 0xbf1a4643, v39
	v_add_f32_e32 v60, v60, v64
	v_dual_add_f32 v100, v44, v45 :: v_dual_add_f32 v85, v46, v55
	v_mul_f32_e32 v44, 0x3ee437d1, v39
	s_delay_alu instid0(VALU_DEP_4) | instskip(SKIP_3) | instid1(VALU_DEP_4)
	v_fmamk_f32 v45, v38, 0x3f4c4adb, v40
	v_fmac_f32_e32 v40, 0xbf4c4adb, v38
	v_add_nc_u32_e32 v48, 0x200, v126
	v_add_f32_e32 v84, v54, v56
	v_add_f32_e32 v105, v45, v60
	v_mul_f32_e32 v45, 0xbe8c1d8e, v39
	v_add_f32_e32 v106, v40, v59
	s_delay_alu instid0(VALU_DEP_2) | instskip(SKIP_1) | instid1(VALU_DEP_2)
	v_fmamk_f32 v40, v38, 0x3f763a35, v45
	v_mul_f32_e32 v43, 0x3f3d2fb0, v39
	v_dual_mul_f32 v39, 0x3dbcf732, v39 :: v_dual_add_f32 v110, v40, v41
	s_delay_alu instid0(VALU_DEP_2) | instskip(SKIP_1) | instid1(VALU_DEP_1)
	v_fmamk_f32 v46, v38, 0xbf2c7751, v43
	v_fmac_f32_e32 v43, 0x3f2c7751, v38
	v_dual_add_f32 v103, v46, v57 :: v_dual_add_f32 v104, v43, v58
	v_fmamk_f32 v43, v38, 0xbf65296c, v44
	s_delay_alu instid0(VALU_DEP_1) | instskip(SKIP_1) | instid1(VALU_DEP_2)
	v_dual_fmac_f32 v44, 0x3f65296c, v38 :: v_dual_add_f32 v107, v43, v61
	v_fmamk_f32 v43, v38, 0xbf7ee86f, v39
	v_dual_fmac_f32 v39, 0x3f7ee86f, v38 :: v_dual_add_f32 v108, v44, v49
	v_add_f32_e32 v47, v63, v47
	s_delay_alu instid0(VALU_DEP_3) | instskip(NEXT) | instid1(VALU_DEP_3)
	v_add_f32_e32 v112, v43, v42
	v_add_f32_e32 v2, v39, v2
	v_fmac_f32_e32 v45, 0xbf763a35, v38
	ds_load_b32 v81, v109
	ds_load_2addr_b32 v[38:39], v126 offset0:119 offset1:136
	v_add_f32_e32 v111, v45, v47
	ds_load_2addr_b32 v[42:43], v126 offset0:221 offset1:238
	ds_load_2addr_b32 v[40:41], v70 offset0:101 offset1:118
	;; [unrolled: 1-line block ×16, first 2 shown]
	global_wb scope:SCOPE_SE
	s_wait_dscnt 0x0
	s_barrier_signal -1
	s_barrier_wait -1
	global_inv scope:SCOPE_SE
	ds_store_2addr_b32 v19, v4, v22 offset1:7
	ds_store_2addr_b32 v19, v74, v88 offset0:14 offset1:21
	ds_store_2addr_b32 v19, v91, v92 offset0:28 offset1:35
	;; [unrolled: 1-line block ×7, first 2 shown]
	ds_store_b32 v19, v21 offset:448
	ds_store_2addr_b32 v20, v87, v82 offset1:7
	ds_store_2addr_b32 v20, v84, v97 offset0:14 offset1:21
	ds_store_2addr_b32 v20, v103, v105 offset0:28 offset1:35
	;; [unrolled: 1-line block ×7, first 2 shown]
	ds_store_b32 v20, v83 offset:448
	s_and_saveexec_b32 s1, s0
	s_cbranch_execz .LBB0_20
; %bb.19:
	v_dual_add_f32 v2, v0, v80 :: v_dual_sub_f32 v19, v78, v79
	v_add_f32_e32 v20, v77, v11
	v_add_f32_e32 v4, v80, v18
	s_delay_alu instid0(VALU_DEP_3) | instskip(NEXT) | instid1(VALU_DEP_3)
	v_dual_sub_f32 v21, v76, v75 :: v_dual_add_f32 v2, v2, v77
	v_dual_sub_f32 v30, v31, v30 :: v_dual_mul_f32 v79, 0x3f3d2fb0, v20
	s_delay_alu instid0(VALU_DEP_3) | instskip(NEXT) | instid1(VALU_DEP_3)
	v_mul_f32_e32 v75, 0x3dbcf732, v4
	v_dual_mul_f32 v23, 0x3f3d2fb0, v4 :: v_dual_add_f32 v2, v2, v53
	v_sub_f32_e32 v26, v29, v26
	v_add3_u32 v6, 0, v6, v127
	v_sub_f32_e32 v37, v37, v52
	s_delay_alu instid0(VALU_DEP_4) | instskip(SKIP_3) | instid1(VALU_DEP_4)
	v_dual_fmamk_f32 v85, v19, 0x3f2c7751, v23 :: v_dual_add_f32 v2, v2, v24
	v_mul_f32_e32 v77, 0xbf1a4643, v4
	v_mul_f32_e32 v22, 0x3f6eb680, v4
	v_sub_f32_e32 v27, v27, v28
	v_dual_add_f32 v85, v0, v85 :: v_dual_add_f32 v2, v2, v15
	v_mul_f32_e32 v83, 0xbf7ba420, v20
	v_add_f32_e32 v15, v15, v16
	v_sub_f32_e32 v9, v9, v25
	s_delay_alu instid0(VALU_DEP_4) | instskip(SKIP_3) | instid1(VALU_DEP_4)
	v_dual_sub_f32 v3, v3, v7 :: v_dual_add_f32 v2, v2, v13
	v_fmac_f32_e32 v23, 0xbf2c7751, v19
	v_fmamk_f32 v94, v21, 0x3e3c28d5, v83
	v_fmac_f32_e32 v83, 0xbe3c28d5, v21
	v_dual_add_f32 v13, v13, v14 :: v_dual_add_f32 v2, v2, v8
	v_fmamk_f32 v87, v19, 0x3f7ee86f, v75
	v_dual_mul_f32 v74, 0x3ee437d1, v4 :: v_dual_add_f32 v23, v0, v23
	s_delay_alu instid0(VALU_DEP_3) | instskip(NEXT) | instid1(VALU_DEP_4)
	v_mul_f32_e32 v28, 0xbf1a4643, v13
	v_dual_add_f32 v2, v2, v1 :: v_dual_fmac_f32 v75, 0xbf7ee86f, v19
	s_delay_alu instid0(VALU_DEP_4) | instskip(NEXT) | instid1(VALU_DEP_4)
	v_dual_mul_f32 v76, 0xbe8c1d8e, v4 :: v_dual_add_f32 v87, v0, v87
	v_fmamk_f32 v86, v19, 0x3f65296c, v74
	s_delay_alu instid0(VALU_DEP_3) | instskip(NEXT) | instid1(VALU_DEP_4)
	v_add_f32_e32 v2, v2, v5
	v_dual_mul_f32 v78, 0xbf59a7d5, v4 :: v_dual_add_f32 v75, v0, v75
	v_fmamk_f32 v89, v19, 0x3f4c4adb, v77
	v_fmamk_f32 v88, v19, 0x3f763a35, v76
	s_delay_alu instid0(VALU_DEP_4) | instskip(NEXT) | instid1(VALU_DEP_4)
	v_add_f32_e32 v2, v2, v12
	v_dual_mul_f32 v4, 0xbf7ba420, v4 :: v_dual_add_f32 v75, v83, v75
	s_delay_alu instid0(VALU_DEP_4) | instskip(SKIP_1) | instid1(VALU_DEP_3)
	v_dual_add_f32 v89, v0, v89 :: v_dual_fmac_f32 v76, 0xbf763a35, v19
	v_fmamk_f32 v90, v19, 0x3f06c442, v78
	v_fmamk_f32 v91, v19, 0x3e3c28d5, v4
	v_mul_f32_e32 v82, 0xbf1a4643, v20
	v_fmac_f32_e32 v4, 0xbe3c28d5, v19
	v_add_f32_e32 v2, v2, v14
	v_add_f32_e32 v86, v0, v86
	;; [unrolled: 1-line block ×3, first 2 shown]
	v_fmac_f32_e32 v77, 0xbf4c4adb, v19
	v_fmamk_f32 v93, v21, 0x3f4c4adb, v82
	v_fmac_f32_e32 v82, 0xbf4c4adb, v21
	v_mul_f32_e32 v80, 0x3dbcf732, v20
	v_add_f32_e32 v88, v0, v88
	v_dual_add_f32 v77, v0, v77 :: v_dual_fmac_f32 v78, 0xbf06c442, v19
	v_mul_f32_e32 v29, 0xbe8c1d8e, v15
	s_delay_alu instid0(VALU_DEP_4) | instskip(SKIP_1) | instid1(VALU_DEP_4)
	v_fmamk_f32 v92, v21, 0x3f7ee86f, v80
	v_dual_fmamk_f32 v84, v19, 0x3eb8f4ab, v22 :: v_dual_add_f32 v1, v1, v5
	v_add_f32_e32 v78, v0, v78
	v_add_f32_e32 v8, v8, v12
	v_mul_f32_e32 v12, 0x3ee437d1, v13
	s_delay_alu instid0(VALU_DEP_4)
	v_add_f32_e32 v84, v0, v84
	v_fmac_f32_e32 v22, 0xbeb8f4ab, v19
	v_fmac_f32_e32 v74, 0xbf65296c, v19
	v_fmamk_f32 v19, v21, 0x3f2c7751, v79
	v_fmamk_f32 v25, v27, 0xbf65296c, v12
	v_fmac_f32_e32 v12, 0x3f65296c, v27
	s_delay_alu instid0(VALU_DEP_4) | instskip(NEXT) | instid1(VALU_DEP_4)
	v_dual_mul_f32 v7, 0xbf7ba420, v1 :: v_dual_add_f32 v74, v0, v74
	v_add_f32_e32 v19, v19, v84
	v_mul_f32_e32 v84, 0x3ee437d1, v20
	v_dual_add_f32 v2, v2, v16 :: v_dual_fmac_f32 v79, 0xbf2c7751, v21
	v_add_f32_e32 v22, v0, v22
	v_add_f32_e32 v90, v0, v90
	s_delay_alu instid0(VALU_DEP_3) | instskip(NEXT) | instid1(VALU_DEP_1)
	v_add_f32_e32 v2, v2, v17
	v_dual_add_f32 v17, v24, v17 :: v_dual_add_f32 v2, v2, v10
	v_add_f32_e32 v10, v53, v10
	s_delay_alu instid0(VALU_DEP_2) | instskip(NEXT) | instid1(VALU_DEP_2)
	v_dual_add_f32 v4, v0, v4 :: v_dual_mul_f32 v31, 0x3dbcf732, v17
	v_mul_f32_e32 v52, 0x3ee437d1, v10
	v_add_f32_e32 v76, v0, v76
	v_add_f32_e32 v0, v2, v11
	v_dual_add_f32 v2, v79, v22 :: v_dual_mul_f32 v79, 0xbe8c1d8e, v20
	v_add_f32_e32 v11, v92, v85
	s_delay_alu instid0(VALU_DEP_3) | instskip(SKIP_1) | instid1(VALU_DEP_4)
	v_add_f32_e32 v0, v0, v18
	v_mul_f32_e32 v18, 0xbf59a7d5, v20
	v_fmamk_f32 v83, v21, 0xbf763a35, v79
	v_fmac_f32_e32 v79, 0x3f763a35, v21
	s_delay_alu instid0(VALU_DEP_1) | instskip(NEXT) | instid1(VALU_DEP_1)
	v_dual_mul_f32 v20, 0x3f6eb680, v20 :: v_dual_add_f32 v77, v79, v77
	v_dual_fmamk_f32 v79, v21, 0xbeb8f4ab, v20 :: v_dual_add_f32 v74, v82, v74
	v_fmamk_f32 v82, v21, 0xbf06c442, v18
	v_fmac_f32_e32 v18, 0x3f06c442, v21
	v_fmac_f32_e32 v20, 0x3eb8f4ab, v21
	s_delay_alu instid0(VALU_DEP_2) | instskip(SKIP_1) | instid1(VALU_DEP_1)
	v_add_f32_e32 v18, v18, v76
	v_dual_add_f32 v76, v83, v89 :: v_dual_fmamk_f32 v83, v21, 0xbf65296c, v84
	v_dual_fmac_f32 v80, 0xbf7ee86f, v21 :: v_dual_add_f32 v53, v83, v90
	v_fmamk_f32 v83, v37, 0x3f65296c, v52
	v_fmac_f32_e32 v52, 0xbf65296c, v37
	s_delay_alu instid0(VALU_DEP_3) | instskip(SKIP_1) | instid1(VALU_DEP_4)
	v_dual_add_f32 v22, v80, v23 :: v_dual_add_f32 v23, v93, v86
	v_add_f32_e32 v80, v94, v87
	v_add_f32_e32 v19, v83, v19
	v_dual_mul_f32 v83, 0xbe8c1d8e, v10 :: v_dual_add_f32 v4, v20, v4
	v_mul_f32_e32 v20, 0xbf7ba420, v10
	v_add_f32_e32 v2, v52, v2
	s_delay_alu instid0(VALU_DEP_2) | instskip(NEXT) | instid1(VALU_DEP_1)
	v_fmamk_f32 v52, v37, 0xbe3c28d5, v20
	v_dual_fmac_f32 v20, 0x3e3c28d5, v37 :: v_dual_add_f32 v23, v52, v23
	v_dual_fmac_f32 v84, 0x3f65296c, v21 :: v_dual_add_f32 v21, v79, v91
	v_mul_f32_e32 v79, 0xbf1a4643, v10
	v_mul_f32_e32 v52, 0x3f3d2fb0, v10
	s_delay_alu instid0(VALU_DEP_4) | instskip(NEXT) | instid1(VALU_DEP_4)
	v_add_f32_e32 v20, v20, v74
	v_add_f32_e32 v78, v84, v78
	v_mul_f32_e32 v74, 0x3f6eb680, v10
	v_fmamk_f32 v84, v37, 0x3f4c4adb, v79
	v_fmac_f32_e32 v79, 0xbf4c4adb, v37
	s_delay_alu instid0(VALU_DEP_2) | instskip(SKIP_1) | instid1(VALU_DEP_3)
	v_dual_add_f32 v11, v84, v11 :: v_dual_fmamk_f32 v84, v37, 0xbf2c7751, v52
	v_fmac_f32_e32 v52, 0x3f2c7751, v37
	v_dual_add_f32 v22, v79, v22 :: v_dual_fmamk_f32 v79, v37, 0xbf763a35, v83
	s_delay_alu instid0(VALU_DEP_2) | instskip(NEXT) | instid1(VALU_DEP_2)
	v_dual_fmac_f32 v83, 0x3f763a35, v37 :: v_dual_add_f32 v18, v52, v18
	v_dual_mul_f32 v52, 0x3dbcf732, v10 :: v_dual_add_f32 v79, v79, v80
	v_fmamk_f32 v80, v37, 0x3eb8f4ab, v74
	v_fmac_f32_e32 v74, 0xbeb8f4ab, v37
	v_mul_f32_e32 v10, 0xbf59a7d5, v10
	s_delay_alu instid0(VALU_DEP_4) | instskip(SKIP_1) | instid1(VALU_DEP_3)
	v_fmamk_f32 v24, v37, 0x3f7ee86f, v52
	v_dual_fmac_f32 v52, 0xbf7ee86f, v37 :: v_dual_add_f32 v75, v83, v75
	v_dual_add_f32 v74, v74, v77 :: v_dual_fmamk_f32 v77, v37, 0x3f06c442, v10
	s_delay_alu instid0(VALU_DEP_3) | instskip(NEXT) | instid1(VALU_DEP_3)
	v_add_f32_e32 v24, v24, v53
	v_dual_fmac_f32 v10, 0xbf06c442, v37 :: v_dual_add_f32 v37, v52, v78
	v_dual_add_f32 v82, v82, v88 :: v_dual_mul_f32 v53, 0xbf7ba420, v17
	v_fmamk_f32 v52, v30, 0x3f7ee86f, v31
	s_delay_alu instid0(VALU_DEP_3) | instskip(SKIP_2) | instid1(VALU_DEP_4)
	v_dual_add_f32 v4, v10, v4 :: v_dual_fmac_f32 v31, 0xbf7ee86f, v30
	v_mul_f32_e32 v10, 0xbe8c1d8e, v17
	v_add_f32_e32 v21, v77, v21
	v_dual_add_f32 v19, v52, v19 :: v_dual_fmamk_f32 v52, v30, 0x3e3c28d5, v53
	v_fmac_f32_e32 v53, 0xbe3c28d5, v30
	v_dual_mul_f32 v77, 0x3f6eb680, v17 :: v_dual_add_f32 v76, v80, v76
	s_delay_alu instid0(VALU_DEP_3) | instskip(SKIP_1) | instid1(VALU_DEP_1)
	v_dual_mul_f32 v78, 0xbf1a4643, v17 :: v_dual_add_f32 v11, v52, v11
	v_mul_f32_e32 v52, 0x3ee437d1, v17
	v_dual_add_f32 v22, v53, v22 :: v_dual_fmamk_f32 v53, v30, 0x3f65296c, v52
	v_dual_add_f32 v2, v31, v2 :: v_dual_fmamk_f32 v31, v30, 0xbf763a35, v10
	v_fmac_f32_e32 v10, 0x3f763a35, v30
	s_delay_alu instid0(VALU_DEP_2) | instskip(SKIP_1) | instid1(VALU_DEP_3)
	v_dual_fmac_f32 v52, 0xbf65296c, v30 :: v_dual_add_f32 v23, v31, v23
	v_fmamk_f32 v31, v30, 0xbeb8f4ab, v77
	v_dual_fmac_f32 v77, 0x3eb8f4ab, v30 :: v_dual_add_f32 v10, v10, v20
	v_mul_f32_e32 v20, 0xbf59a7d5, v17
	s_delay_alu instid0(VALU_DEP_4) | instskip(NEXT) | instid1(VALU_DEP_3)
	v_dual_add_f32 v18, v52, v18 :: v_dual_mul_f32 v17, 0x3f3d2fb0, v17
	v_add_f32_e32 v75, v77, v75
	v_add_f32_e32 v31, v31, v79
	s_delay_alu instid0(VALU_DEP_4) | instskip(SKIP_1) | instid1(VALU_DEP_2)
	v_fmamk_f32 v77, v30, 0x3f06c442, v20
	v_fmac_f32_e32 v20, 0xbf06c442, v30
	v_add_f32_e32 v52, v77, v76
	v_fmamk_f32 v76, v30, 0xbf4c4adb, v78
	v_fmac_f32_e32 v78, 0x3f4c4adb, v30
	s_delay_alu instid0(VALU_DEP_2)
	v_add_f32_e32 v16, v76, v24
	v_fmamk_f32 v24, v30, 0xbf2c7751, v17
	v_fmac_f32_e32 v17, 0x3f2c7751, v30
	v_fmamk_f32 v30, v26, 0x3f763a35, v29
	v_fmac_f32_e32 v29, 0xbf763a35, v26
	v_add_f32_e32 v37, v78, v37
	s_delay_alu instid0(VALU_DEP_4) | instskip(SKIP_1) | instid1(VALU_DEP_4)
	v_dual_add_f32 v21, v24, v21 :: v_dual_add_f32 v4, v17, v4
	v_mul_f32_e32 v17, 0x3f3d2fb0, v15
	v_dual_add_f32 v19, v30, v19 :: v_dual_add_f32 v2, v29, v2
	v_mul_f32_e32 v30, 0x3ee437d1, v15
	v_mul_f32_e32 v24, 0xbf59a7d5, v15
	s_delay_alu instid0(VALU_DEP_4) | instskip(SKIP_2) | instid1(VALU_DEP_3)
	v_dual_fmamk_f32 v29, v26, 0xbf2c7751, v17 :: v_dual_add_f32 v82, v84, v82
	v_fmac_f32_e32 v17, 0x3f2c7751, v26
	v_add_f32_e32 v20, v20, v74
	v_dual_fmamk_f32 v74, v26, 0xbf06c442, v24 :: v_dual_add_f32 v23, v29, v23
	v_fmamk_f32 v29, v26, 0x3f65296c, v30
	v_fmac_f32_e32 v30, 0xbf65296c, v26
	s_delay_alu instid0(VALU_DEP_3) | instskip(SKIP_1) | instid1(VALU_DEP_2)
	v_dual_fmac_f32 v24, 0x3f06c442, v26 :: v_dual_add_f32 v11, v74, v11
	v_dual_add_f32 v10, v17, v10 :: v_dual_mul_f32 v17, 0x3dbcf732, v15
	v_dual_add_f32 v29, v29, v31 :: v_dual_add_f32 v22, v24, v22
	v_dual_mul_f32 v24, 0xbf7ba420, v15 :: v_dual_add_f32 v53, v53, v82
	s_delay_alu instid0(VALU_DEP_3) | instskip(SKIP_1) | instid1(VALU_DEP_3)
	v_fmamk_f32 v31, v26, 0xbf7ee86f, v17
	v_fmac_f32_e32 v17, 0x3f7ee86f, v26
	v_fmamk_f32 v74, v26, 0x3e3c28d5, v24
	s_delay_alu instid0(VALU_DEP_2) | instskip(NEXT) | instid1(VALU_DEP_1)
	v_dual_fmac_f32 v24, 0xbe3c28d5, v26 :: v_dual_add_f32 v17, v17, v20
	v_add_f32_e32 v18, v24, v18
	v_mul_f32_e32 v24, 0x3f6eb680, v15
	v_mul_f32_e32 v15, 0xbf1a4643, v15
	s_delay_alu instid0(VALU_DEP_2) | instskip(NEXT) | instid1(VALU_DEP_2)
	v_fmamk_f32 v14, v26, 0x3eb8f4ab, v24
	v_fmamk_f32 v20, v26, 0x3f4c4adb, v15
	v_fmac_f32_e32 v15, 0xbf4c4adb, v26
	v_fmac_f32_e32 v24, 0xbeb8f4ab, v26
	s_delay_alu instid0(VALU_DEP_3) | instskip(NEXT) | instid1(VALU_DEP_3)
	v_add_f32_e32 v20, v20, v21
	v_dual_add_f32 v4, v15, v4 :: v_dual_mul_f32 v15, 0x3f6eb680, v13
	v_fmamk_f32 v21, v27, 0x3f4c4adb, v28
	v_fmac_f32_e32 v28, 0xbf4c4adb, v27
	s_delay_alu instid0(VALU_DEP_4) | instskip(NEXT) | instid1(VALU_DEP_4)
	v_add_f32_e32 v20, v25, v20
	v_add_f32_e32 v4, v12, v4
	v_fmamk_f32 v26, v27, 0x3eb8f4ab, v15
	v_fmac_f32_e32 v15, 0xbeb8f4ab, v27
	v_dual_add_f32 v19, v21, v19 :: v_dual_add_f32 v2, v28, v2
	v_dual_mul_f32 v28, 0xbf59a7d5, v13 :: v_dual_add_f32 v31, v31, v52
	s_delay_alu instid0(VALU_DEP_3) | instskip(SKIP_3) | instid1(VALU_DEP_1)
	v_dual_add_f32 v10, v15, v10 :: v_dual_mul_f32 v15, 0x3f3d2fb0, v13
	v_add_f32_e32 v14, v14, v16
	v_add_f32_e32 v16, v24, v37
	v_mul_f32_e32 v24, 0xbe8c1d8e, v13
	v_fmamk_f32 v21, v27, 0xbf763a35, v24
	v_fmac_f32_e32 v24, 0x3f763a35, v27
	s_delay_alu instid0(VALU_DEP_2) | instskip(NEXT) | instid1(VALU_DEP_2)
	v_add_f32_e32 v11, v21, v11
	v_dual_add_f32 v21, v24, v22 :: v_dual_mul_f32 v24, 0x3dbcf732, v13
	v_dual_add_f32 v22, v26, v23 :: v_dual_fmamk_f32 v23, v27, 0x3f06c442, v28
	s_delay_alu instid0(VALU_DEP_2) | instskip(NEXT) | instid1(VALU_DEP_2)
	v_fmamk_f32 v26, v27, 0xbf7ee86f, v24
	v_dual_fmac_f32 v24, 0x3f7ee86f, v27 :: v_dual_add_f32 v23, v23, v29
	v_fmamk_f32 v29, v27, 0x3f2c7751, v15
	s_delay_alu instid0(VALU_DEP_2) | instskip(NEXT) | instid1(VALU_DEP_2)
	v_dual_fmac_f32 v15, 0xbf2c7751, v27 :: v_dual_add_f32 v18, v24, v18
	v_dual_mul_f32 v24, 0xbf7ba420, v13 :: v_dual_add_f32 v29, v29, v31
	s_delay_alu instid0(VALU_DEP_2) | instskip(SKIP_1) | instid1(VALU_DEP_3)
	v_add_f32_e32 v15, v15, v17
	v_mul_f32_e32 v17, 0xbf59a7d5, v8
	v_fmamk_f32 v13, v27, 0x3e3c28d5, v24
	s_delay_alu instid0(VALU_DEP_1) | instskip(NEXT) | instid1(VALU_DEP_1)
	v_dual_fmac_f32 v24, 0xbe3c28d5, v27 :: v_dual_add_f32 v13, v13, v14
	v_add_f32_e32 v14, v24, v16
	s_delay_alu instid0(VALU_DEP_4) | instskip(SKIP_2) | instid1(VALU_DEP_3)
	v_fmamk_f32 v16, v9, 0x3f06c442, v17
	v_mul_f32_e32 v24, 0x3ee437d1, v8
	v_dual_fmac_f32 v17, 0xbf06c442, v9 :: v_dual_add_f32 v30, v30, v75
	v_add_f32_e32 v12, v16, v19
	v_mul_f32_e32 v16, 0x3dbcf732, v8
	s_delay_alu instid0(VALU_DEP_4) | instskip(SKIP_2) | instid1(VALU_DEP_4)
	v_fmamk_f32 v19, v9, 0xbf65296c, v24
	v_fmac_f32_e32 v24, 0x3f65296c, v9
	v_dual_add_f32 v2, v17, v2 :: v_dual_mul_f32 v17, 0xbf1a4643, v8
	v_fmamk_f32 v25, v9, 0x3f7ee86f, v16
	s_delay_alu instid0(VALU_DEP_4) | instskip(NEXT) | instid1(VALU_DEP_4)
	v_add_f32_e32 v11, v19, v11
	v_add_f32_e32 v19, v24, v21
	v_fmac_f32_e32 v16, 0xbf7ee86f, v9
	v_fmamk_f32 v21, v9, 0xbf4c4adb, v17
	v_mul_f32_e32 v24, 0x3f6eb680, v8
	v_dual_add_f32 v22, v25, v22 :: v_dual_mul_f32 v25, 0x3f3d2fb0, v8
	s_delay_alu instid0(VALU_DEP_4) | instskip(NEXT) | instid1(VALU_DEP_4)
	v_add_f32_e32 v10, v16, v10
	v_add_f32_e32 v16, v21, v23
	s_delay_alu instid0(VALU_DEP_4) | instskip(SKIP_3) | instid1(VALU_DEP_3)
	v_fmamk_f32 v23, v9, 0x3eb8f4ab, v24
	v_fmac_f32_e32 v24, 0xbeb8f4ab, v9
	v_mul_f32_e32 v21, 0xbf7ba420, v8
	v_mul_f32_e32 v8, 0xbe8c1d8e, v8
	v_dual_fmac_f32 v17, 0x3f4c4adb, v9 :: v_dual_add_f32 v18, v24, v18
	v_fmamk_f32 v24, v9, 0xbf2c7751, v25
	v_fmac_f32_e32 v25, 0x3f2c7751, v9
	s_delay_alu instid0(VALU_DEP_2)
	v_dual_add_f32 v5, v24, v13 :: v_dual_fmac_f32 v28, 0xbf06c442, v27
	v_fmamk_f32 v27, v9, 0x3e3c28d5, v21
	v_add_f32_e32 v53, v74, v53
	v_fmac_f32_e32 v21, 0xbe3c28d5, v9
	v_fmamk_f32 v13, v9, 0x3f763a35, v8
	v_dual_fmac_f32 v8, 0xbf763a35, v9 :: v_dual_add_f32 v9, v25, v14
	v_mul_f32_e32 v14, 0x3f6eb680, v1
	v_add_f32_e32 v28, v28, v30
	v_dual_add_f32 v26, v26, v53 :: v_dual_add_f32 v15, v21, v15
	v_add_f32_e32 v13, v13, v20
	s_delay_alu instid0(VALU_DEP_4) | instskip(SKIP_4) | instid1(VALU_DEP_4)
	v_fmamk_f32 v21, v3, 0xbeb8f4ab, v14
	v_fmamk_f32 v20, v3, 0x3e3c28d5, v7
	v_dual_add_f32 v4, v8, v4 :: v_dual_fmac_f32 v7, 0xbe3c28d5, v3
	v_mul_f32_e32 v8, 0xbf59a7d5, v1
	v_fmac_f32_e32 v14, 0x3eb8f4ab, v3
	v_add_f32_e32 v12, v20, v12
	v_mul_f32_e32 v20, 0x3f3d2fb0, v1
	v_add_f32_e32 v2, v7, v2
	s_delay_alu instid0(VALU_DEP_4)
	v_dual_fmamk_f32 v7, v3, 0x3f06c442, v8 :: v_dual_add_f32 v14, v14, v19
	v_fmac_f32_e32 v8, 0xbf06c442, v3
	v_mul_f32_e32 v19, 0xbf1a4643, v1
	v_add_f32_e32 v17, v17, v28
	v_add_f32_e32 v23, v23, v26
	;; [unrolled: 1-line block ×4, first 2 shown]
	v_fmamk_f32 v21, v3, 0xbf2c7751, v20
	v_fmac_f32_e32 v20, 0x3f2c7751, v3
	v_add_f32_e32 v8, v8, v10
	v_mul_f32_e32 v10, 0x3ee437d1, v1
	v_fmamk_f32 v22, v3, 0x3f4c4adb, v19
	s_delay_alu instid0(VALU_DEP_4) | instskip(SKIP_1) | instid1(VALU_DEP_3)
	v_dual_add_f32 v16, v21, v16 :: v_dual_add_f32 v17, v20, v17
	v_add_f32_e32 v26, v27, v29
	v_dual_fmamk_f32 v20, v3, 0xbf65296c, v10 :: v_dual_add_f32 v21, v22, v23
	v_mul_f32_e32 v22, 0xbe8c1d8e, v1
	v_fmac_f32_e32 v10, 0x3f65296c, v3
	v_mul_f32_e32 v1, 0x3dbcf732, v1
	v_fmac_f32_e32 v19, 0xbf4c4adb, v3
	s_delay_alu instid0(VALU_DEP_2) | instskip(NEXT) | instid1(VALU_DEP_2)
	v_dual_add_f32 v10, v10, v15 :: v_dual_fmamk_f32 v15, v3, 0xbf7ee86f, v1
	v_dual_add_f32 v18, v19, v18 :: v_dual_fmac_f32 v1, 0x3f7ee86f, v3
	s_delay_alu instid0(VALU_DEP_2)
	v_add_f32_e32 v13, v15, v13
	v_add_nc_u32_e32 v15, 0x800, v6
	v_dual_add_f32 v19, v20, v26 :: v_dual_fmamk_f32 v20, v3, 0x3f763a35, v22
	v_fmac_f32_e32 v22, 0xbf763a35, v3
	v_add_nc_u32_e32 v3, 0x400, v6
	v_add_f32_e32 v1, v1, v4
	s_delay_alu instid0(VALU_DEP_4) | instskip(NEXT) | instid1(VALU_DEP_4)
	v_add_f32_e32 v5, v20, v5
	v_add_f32_e32 v9, v22, v9
	ds_store_2addr_b32 v3, v0, v12 offset0:220 offset1:227
	ds_store_2addr_b32 v3, v11, v7 offset0:234 offset1:241
	ds_store_2addr_b32 v3, v16, v21 offset0:248 offset1:255
	ds_store_2addr_b32 v15, v19, v5 offset0:6 offset1:13
	ds_store_2addr_b32 v15, v13, v1 offset0:20 offset1:27
	ds_store_2addr_b32 v15, v9, v10 offset0:34 offset1:41
	ds_store_2addr_b32 v15, v18, v17 offset0:48 offset1:55
	ds_store_2addr_b32 v15, v8, v14 offset0:62 offset1:69
	ds_store_b32 v6, v2 offset:2352
.LBB0_20:
	s_wait_alu 0xfffe
	s_or_b32 exec_lo, exec_lo, s1
	global_wb scope:SCOPE_SE
	s_wait_dscnt 0x0
	s_barrier_signal -1
	s_barrier_wait -1
	global_inv scope:SCOPE_SE
	s_and_saveexec_b32 s0, vcc_lo
	s_cbranch_execz .LBB0_22
; %bb.21:
	v_dual_mov_b32 v53, 0 :: v_dual_add_nc_u32 v52, 0x198, v36
	v_mul_lo_u32 v92, s3, v34
	v_mul_lo_u32 v93, s2, v35
	v_mad_co_u64_u32 v[34:35], null, s2, v34, 0
	s_delay_alu instid0(VALU_DEP_4) | instskip(SKIP_1) | instid1(VALU_DEP_3)
	v_lshlrev_b64_e32 v[0:1], 3, v[52:53]
	v_dual_mov_b32 v37, v53 :: v_dual_add_nc_u32 v52, 0x154, v36
	v_add3_u32 v35, v35, v93, v92
	s_delay_alu instid0(VALU_DEP_3) | instskip(SKIP_1) | instid1(VALU_DEP_4)
	v_add_co_u32 v0, vcc_lo, s8, v0
	s_wait_alu 0xfffd
	v_add_co_ci_u32_e32 v1, vcc_lo, s9, v1, vcc_lo
	s_delay_alu instid0(VALU_DEP_3)
	v_lshlrev_b64_e32 v[34:35], 3, v[34:35]
	s_clause 0x1
	global_load_b128 v[12:15], v[0:1], off offset:896
	global_load_b128 v[8:11], v[0:1], off offset:912
	v_lshlrev_b64_e32 v[0:1], 3, v[52:53]
	v_add_nc_u32_e32 v52, 0x110, v36
	v_add_nc_u32_e32 v80, 0x400, v126
	;; [unrolled: 1-line block ×4, first 2 shown]
	s_delay_alu instid0(VALU_DEP_4) | instskip(SKIP_4) | instid1(VALU_DEP_3)
	v_lshlrev_b64_e32 v[16:17], 3, v[52:53]
	v_add_nc_u32_e32 v52, 0xcc, v36
	v_add_co_u32 v0, vcc_lo, s8, v0
	s_wait_alu 0xfffd
	v_add_co_ci_u32_e32 v1, vcc_lo, s9, v1, vcc_lo
	v_lshlrev_b64_e32 v[24:25], 3, v[52:53]
	v_add_co_u32 v16, vcc_lo, s8, v16
	s_wait_alu 0xfffd
	v_add_co_ci_u32_e32 v17, vcc_lo, s9, v17, vcc_lo
	s_clause 0x1
	global_load_b128 v[4:7], v[0:1], off offset:896
	global_load_b128 v[0:3], v[0:1], off offset:912
	v_add_co_u32 v24, vcc_lo, s8, v24
	s_wait_alu 0xfffd
	v_add_co_ci_u32_e32 v25, vcc_lo, s9, v25, vcc_lo
	v_lshlrev_b32_e32 v52, 2, v102
	s_clause 0x3
	global_load_b128 v[20:23], v[16:17], off offset:896
	global_load_b128 v[16:19], v[16:17], off offset:912
	;; [unrolled: 1-line block ×4, first 2 shown]
	v_lshlrev_b64_e32 v[36:37], 3, v[36:37]
	v_lshlrev_b64_e32 v[24:25], 3, v[52:53]
	v_lshlrev_b32_e32 v52, 2, v101
	s_delay_alu instid0(VALU_DEP_2) | instskip(SKIP_1) | instid1(VALU_DEP_3)
	v_add_co_u32 v24, vcc_lo, s8, v24
	s_wait_alu 0xfffd
	v_add_co_ci_u32_e32 v25, vcc_lo, s9, v25, vcc_lo
	s_clause 0x1
	global_load_b128 v[28:31], v[24:25], off offset:896
	global_load_b128 v[24:27], v[24:25], off offset:912
	ds_load_2addr_b32 v[74:75], v126 offset0:221 offset1:238
	ds_load_2addr_b32 v[106:107], v126 offset0:85 offset1:102
	;; [unrolled: 1-line block ×11, first 2 shown]
	v_add_co_u32 v36, vcc_lo, s8, v36
	s_wait_alu 0xfffd
	v_add_co_ci_u32_e32 v37, vcc_lo, s9, v37, vcc_lo
	s_wait_loadcnt 0x8
	v_mul_f32_e32 v108, v44, v9
	s_wait_dscnt 0x2
	v_mul_f32_e32 v9, v118, v9
	ds_load_2addr_b32 v[127:128], v90 offset0:15 offset1:32
	ds_load_2addr_b32 v[129:130], v80 offset0:135 offset1:152
	;; [unrolled: 1-line block ×3, first 2 shown]
	v_lshlrev_b64_e32 v[90:91], 3, v[52:53]
	ds_load_2addr_b32 v[133:134], v80 offset0:237 offset1:254
	v_dual_mul_f32 v52, v73, v11 :: v_dual_fmac_f32 v9, v44, v8
	v_mul_f32_e32 v124, v117, v11
	v_mul_f32_e32 v11, v115, v15
	v_add_co_u32 v102, vcc_lo, s8, v90
	s_wait_alu 0xfffd
	v_add_co_ci_u32_e32 v103, vcc_lo, s9, v91, vcc_lo
	s_clause 0x3
	global_load_b128 v[90:93], v[36:37], off offset:912
	global_load_b128 v[94:97], v[36:37], off offset:896
	;; [unrolled: 1-line block ×4, first 2 shown]
	v_dual_mul_f32 v36, v42, v13 :: v_dual_mul_f32 v37, v71, v15
	v_mul_f32_e32 v13, v74, v13
	v_fmac_f32_e32 v11, v71, v14
	s_wait_loadcnt_dscnt 0xa05
	v_mul_f32_e32 v71, v121, v1
	v_fma_f32 v15, v74, v12, -v36
	v_fma_f32 v36, v115, v14, -v37
	;; [unrolled: 1-line block ×3, first 2 shown]
	v_dual_fmac_f32 v13, v42, v12 :: v_dual_mul_f32 v12, v72, v3
	v_mul_f32_e32 v14, v67, v1
	v_dual_mul_f32 v42, v116, v3 :: v_dual_add_f32 v117, v11, v9
	v_sub_f32_e32 v1, v15, v36
	v_fma_f32 v52, v118, v8, -v108
	v_mul_f32_e32 v8, v69, v5
	v_dual_mul_f32 v5, v111, v5 :: v_dual_fmac_f32 v124, v73, v10
	s_delay_alu instid0(VALU_DEP_3) | instskip(SKIP_1) | instid1(VALU_DEP_3)
	v_dual_mul_f32 v10, v70, v7 :: v_dual_sub_f32 v3, v37, v52
	v_dual_mul_f32 v44, v114, v7 :: v_dual_add_f32 v7, v36, v52
	v_sub_f32_e32 v115, v124, v9
	v_dual_sub_f32 v73, v13, v124 :: v_dual_sub_f32 v74, v11, v9
	v_add_f32_e32 v141, v13, v124
	v_dual_sub_f32 v108, v13, v11 :: v_dual_sub_f32 v137, v52, v37
	v_dual_sub_f32 v118, v15, v37 :: v_dual_fmac_f32 v5, v69, v4
	v_sub_f32_e32 v135, v36, v52
	v_dual_sub_f32 v136, v36, v15 :: v_dual_sub_f32 v139, v11, v13
	v_add_f32_e32 v138, v15, v37
	v_dual_sub_f32 v140, v9, v124 :: v_dual_add_f32 v15, v15, v107
	v_dual_add_f32 v13, v65, v13 :: v_dual_fmac_f32 v42, v72, v2
	v_fma_f32 v8, v111, v4, -v8
	v_fma_f32 v111, v114, v6, -v10
	;; [unrolled: 1-line block ×4, first 2 shown]
	v_dual_fmac_f32 v44, v70, v6 :: v_dual_fmac_f32 v71, v67, v0
	s_wait_loadcnt 0x9
	v_mul_f32_e32 v4, v68, v21
	s_wait_loadcnt 0x8
	v_dual_mul_f32 v6, v61, v23 :: v_dual_mul_f32 v69, v120, v17
	v_mul_f32_e32 v10, v63, v19
	v_mul_f32_e32 v12, v66, v17
	v_dual_mul_f32 v14, v110, v21 :: v_dual_add_f32 v15, v36, v15
	s_wait_dscnt 0x3
	v_mul_f32_e32 v67, v128, v19
	v_mul_f32_e32 v23, v123, v23
	v_dual_add_f32 v70, v1, v3 :: v_dual_add_f32 v19, v111, v116
	v_fma_f32 v1, -0.5, v7, v107
	v_dual_add_f32 v72, v108, v115 :: v_dual_sub_f32 v21, v5, v44
	v_fma_f32 v0, -0.5, v117, v65
	v_dual_add_f32 v108, v136, v137 :: v_dual_add_f32 v11, v13, v11
	v_fma_f32 v3, -0.5, v138, v107
	v_add_f32_e32 v107, v139, v140
	v_fma_f32 v2, -0.5, v141, v65
	v_dual_sub_f32 v13, v8, v111 :: v_dual_sub_f32 v36, v5, v42
	v_sub_f32_e32 v17, v114, v116
	v_dual_sub_f32 v115, v42, v71 :: v_dual_sub_f32 v138, v116, v114
	v_dual_add_f32 v117, v44, v71 :: v_dual_add_f32 v142, v5, v42
	v_sub_f32_e32 v121, v8, v114
	v_dual_sub_f32 v137, v111, v8 :: v_dual_sub_f32 v140, v44, v5
	v_add_f32_e32 v139, v8, v114
	v_dual_sub_f32 v141, v71, v42 :: v_dual_fmac_f32 v14, v68, v20
	v_dual_add_f32 v8, v8, v106 :: v_dual_fmac_f32 v69, v66, v16
	v_add_f32_e32 v143, v64, v5
	v_fma_f32 v110, v110, v20, -v4
	v_fma_f32 v123, v123, v22, -v6
	;; [unrolled: 1-line block ×4, first 2 shown]
	s_wait_loadcnt 0x7
	v_dual_fmac_f32 v67, v63, v18 :: v_dual_mul_f32 v18, v60, v85
	s_wait_loadcnt 0x6
	v_dual_fmac_f32 v23, v61, v22 :: v_dual_mul_f32 v68, v127, v89
	v_dual_mul_f32 v22, v57, v87 :: v_dual_mul_f32 v63, v122, v85
	v_fmamk_f32 v6, v135, 0x3f737871, v2
	s_wait_dscnt 0x2
	v_dual_mul_f32 v66, v130, v87 :: v_dual_fmamk_f32 v5, v73, 0xbf737871, v1
	v_dual_sub_f32 v65, v44, v71 :: v_dual_sub_f32 v136, v111, v116
	v_mul_f32_e32 v16, v59, v83
	v_dual_mul_f32 v20, v62, v89 :: v_dual_mul_f32 v61, v79, v83
	v_fmamk_f32 v4, v118, 0x3f737871, v0
	v_fmamk_f32 v7, v74, 0xbf737871, v3
	v_dual_add_f32 v15, v52, v15 :: v_dual_fmac_f32 v0, 0xbf737871, v118
	v_dual_add_f32 v52, v11, v9 :: v_dual_fmac_f32 v3, 0x3f737871, v74
	v_dual_fmac_f32 v2, 0xbf737871, v135 :: v_dual_add_f32 v83, v13, v17
	v_fma_f32 v11, -0.5, v19, v106
	v_add_f32_e32 v85, v21, v115
	v_fma_f32 v10, -0.5, v117, v64
	v_dual_add_f32 v87, v137, v138 :: v_dual_add_f32 v138, v23, v69
	v_fma_f32 v13, -0.5, v139, v106
	v_fma_f32 v12, -0.5, v142, v64
	v_dual_add_f32 v19, v111, v8 :: v_dual_add_f32 v146, v14, v67
	v_add_f32_e32 v21, v143, v44
	v_add_f32_e32 v106, v123, v120
	v_dual_sub_f32 v137, v67, v69 :: v_dual_fmac_f32 v66, v57, v86
	v_add_f32_e32 v143, v110, v128
	v_add_f32_e32 v147, v55, v14
	v_fma_f32 v122, v122, v84, -v18
	v_fma_f32 v130, v130, v86, -v22
	v_dual_fmac_f32 v63, v60, v84 :: v_dual_fmac_f32 v4, 0x3f167918, v135
	v_dual_fmac_f32 v1, 0x3f737871, v73 :: v_dual_sub_f32 v64, v128, v120
	v_dual_add_f32 v89, v140, v141 :: v_dual_sub_f32 v140, v123, v120
	v_sub_f32_e32 v44, v110, v123
	v_dual_sub_f32 v111, v14, v67 :: v_dual_sub_f32 v142, v120, v128
	v_dual_sub_f32 v115, v23, v69 :: v_dual_fmac_f32 v68, v62, v88
	v_dual_sub_f32 v117, v14, v23 :: v_dual_sub_f32 v144, v23, v14
	s_wait_loadcnt 0x5
	v_dual_sub_f32 v139, v110, v128 :: v_dual_mul_f32 v22, v49, v31
	v_dual_sub_f32 v141, v123, v110 :: v_dual_add_f32 v110, v110, v113
	v_fma_f32 v79, v79, v82, -v16
	v_fma_f32 v127, v127, v88, -v20
	s_wait_loadcnt 0x4
	v_dual_fmac_f32 v61, v59, v82 :: v_dual_mul_f32 v148, v129, v25
	v_mul_f32_e32 v82, v58, v29
	v_dual_mul_f32 v84, v51, v27 :: v_dual_mul_f32 v57, v56, v25
	v_fmac_f32_e32 v6, 0xbf167918, v118
	s_wait_dscnt 0x0
	v_mul_f32_e32 v88, v134, v27
	v_dual_add_f32 v9, v37, v15 :: v_dual_fmamk_f32 v16, v136, 0xbf737871, v12
	v_dual_fmac_f32 v3, 0xbf167918, v73 :: v_dual_fmac_f32 v0, 0xbf167918, v135
	v_fmamk_f32 v15, v36, 0xbf737871, v11
	v_dual_fmamk_f32 v14, v121, 0x3f737871, v10 :: v_dual_add_f32 v25, v116, v19
	v_dual_fmamk_f32 v17, v65, 0x3f737871, v13 :: v_dual_fmac_f32 v12, 0x3f737871, v136
	v_dual_add_f32 v27, v21, v71 :: v_dual_sub_f32 v60, v127, v130
	v_fmac_f32_e32 v13, 0xbf737871, v65
	v_dual_fmac_f32 v11, 0x3f737871, v36 :: v_dual_add_f32 v62, v122, v130
	v_fma_f32 v19, -0.5, v106, v113
	v_fma_f32 v18, -0.5, v138, v55
	;; [unrolled: 1-line block ×4, first 2 shown]
	v_add_f32_e32 v55, v147, v23
	v_dual_add_f32 v113, v63, v66 :: v_dual_add_f32 v138, v61, v68
	v_dual_sub_f32 v145, v69, v67 :: v_dual_mul_f32 v86, v78, v29
	v_dual_mul_f32 v31, v132, v31 :: v_dual_fmac_f32 v2, 0x3f167918, v118
	v_dual_fmac_f32 v5, 0xbf167918, v74 :: v_dual_add_f32 v8, v124, v52
	v_dual_fmac_f32 v7, 0x3f167918, v73 :: v_dual_add_f32 v44, v44, v64
	v_dual_fmac_f32 v1, 0x3f167918, v74 :: v_dual_add_f32 v52, v117, v137
	v_add_f32_e32 v64, v141, v142
	v_dual_add_f32 v37, v123, v110 :: v_dual_sub_f32 v106, v61, v63
	v_dual_sub_f32 v59, v79, v122 :: v_dual_sub_f32 v118, v122, v79
	v_dual_sub_f32 v73, v61, v68 :: v_dual_sub_f32 v116, v79, v127
	v_sub_f32_e32 v110, v68, v66
	v_dual_sub_f32 v117, v122, v130 :: v_dual_add_f32 v124, v79, v127
	v_dual_sub_f32 v135, v63, v61 :: v_dual_fmac_f32 v86, v58, v28
	v_dual_add_f32 v61, v54, v61 :: v_dual_fmac_f32 v148, v56, v24
	v_fmac_f32_e32 v3, 0x3e9e377a, v108
	v_dual_fmac_f32 v17, 0xbf167918, v36 :: v_dual_fmac_f32 v12, 0xbf167918, v121
	v_dual_fmac_f32 v16, 0x3f167918, v121 :: v_dual_fmac_f32 v13, 0x3f167918, v36
	v_add_f32_e32 v36, v55, v69
	v_fma_f32 v56, -0.5, v62, v112
	v_fma_f32 v55, -0.5, v113, v54
	v_dual_add_f32 v71, v144, v145 :: v_dual_sub_f32 v74, v63, v66
	v_dual_add_f32 v79, v79, v112 :: v_dual_fmac_f32 v2, 0x3e9e377a, v107
	v_fma_f32 v132, v132, v30, -v22
	v_fma_f32 v129, v129, v24, -v57
	v_dual_fmac_f32 v31, v49, v30 :: v_dual_fmac_f32 v4, 0x3e9e377a, v72
	v_dual_fmac_f32 v7, 0x3e9e377a, v108 :: v_dual_add_f32 v22, v42, v27
	v_dual_fmac_f32 v1, 0x3e9e377a, v70 :: v_dual_add_f32 v42, v59, v60
	;; [unrolled: 1-line block ×3, first 2 shown]
	v_fmamk_f32 v25, v111, 0xbf737871, v19
	v_dual_fmamk_f32 v24, v139, 0x3f737871, v18 :: v_dual_fmac_f32 v19, 0x3f737871, v111
	v_dual_fmamk_f32 v30, v115, 0x3f737871, v21 :: v_dual_add_f32 v27, v120, v37
	v_dual_fmac_f32 v21, 0xbf737871, v115 :: v_dual_fmamk_f32 v60, v73, 0xbf737871, v56
	v_fma_f32 v58, -0.5, v124, v112
	v_fma_f32 v57, -0.5, v138, v54
	v_dual_fmamk_f32 v59, v116, 0x3f737871, v55 :: v_dual_fmac_f32 v56, 0x3f737871, v73
	v_dual_sub_f32 v123, v130, v127 :: v_dual_fmac_f32 v88, v51, v26
	v_dual_sub_f32 v137, v66, v68 :: v_dual_fmac_f32 v6, 0x3e9e377a, v107
	v_dual_fmac_f32 v11, 0x3f167918, v65 :: v_dual_add_f32 v54, v122, v79
	v_dual_fmamk_f32 v29, v140, 0xbf737871, v20 :: v_dual_add_f32 v36, v67, v36
	v_dual_fmac_f32 v20, 0x3f737871, v140 :: v_dual_add_f32 v49, v106, v110
	v_fmac_f32_e32 v18, 0xbf737871, v139
	v_dual_add_f32 v63, v61, v63 :: v_dual_fmac_f32 v16, 0x3e9e377a, v89
	v_dual_add_f32 v69, v132, v129 :: v_dual_fmac_f32 v30, 0xbf167918, v111
	s_delay_alu instid0(VALU_DEP_3)
	v_dual_fmac_f32 v25, 0xbf167918, v115 :: v_dual_fmac_f32 v18, 0xbf167918, v140
	v_dual_fmac_f32 v21, 0x3f167918, v111 :: v_dual_fmac_f32 v56, 0x3f167918, v74
	v_fmac_f32_e32 v19, 0x3f167918, v115
	v_dual_add_f32 v37, v128, v27 :: v_dual_fmamk_f32 v62, v74, 0x3f737871, v58
	v_dual_fmamk_f32 v61, v117, 0xbf737871, v57 :: v_dual_fmac_f32 v58, 0xbf737871, v74
	v_fmac_f32_e32 v57, 0x3f737871, v117
	v_fmac_f32_e32 v60, 0xbf167918, v74
	;; [unrolled: 1-line block ×4, first 2 shown]
	v_dual_add_f32 v51, v118, v123 :: v_dual_fmac_f32 v14, 0x3e9e377a, v85
	v_dual_add_f32 v65, v135, v137 :: v_dual_fmac_f32 v24, 0x3f167918, v140
	v_dual_fmac_f32 v29, 0x3f167918, v139 :: v_dual_fmac_f32 v58, 0x3f167918, v73
	v_dual_fmac_f32 v20, 0xbf167918, v139 :: v_dual_add_f32 v27, v130, v54
	v_fmac_f32_e32 v25, 0x3e9e377a, v44
	s_delay_alu instid0(VALU_DEP_3)
	v_dual_fmac_f32 v30, 0x3e9e377a, v64 :: v_dual_fmac_f32 v29, 0x3e9e377a, v71
	v_dual_fmac_f32 v21, 0x3e9e377a, v64 :: v_dual_fmac_f32 v60, 0x3e9e377a, v42
	v_fmac_f32_e32 v56, 0x3e9e377a, v42
	v_fma_f32 v28, v78, v28, -v82
	v_fmac_f32_e32 v62, 0xbf167918, v73
	v_fma_f32 v42, v134, v26, -v84
	v_add_f32_e32 v26, v31, v148
	v_fmac_f32_e32 v19, 0x3e9e377a, v44
	v_fma_f32 v64, -0.5, v69, v77
	v_sub_f32_e32 v44, v86, v88
	v_fmac_f32_e32 v55, 0xbf737871, v116
	v_dual_fmac_f32 v13, 0x3e9e377a, v87 :: v_dual_add_f32 v54, v63, v66
	v_dual_fmac_f32 v11, 0x3e9e377a, v83 :: v_dual_fmac_f32 v24, 0x3e9e377a, v52
	v_dual_fmac_f32 v18, 0x3e9e377a, v52 :: v_dual_add_f32 v27, v127, v27
	v_dual_fmac_f32 v59, 0x3f167918, v117 :: v_dual_sub_f32 v52, v31, v148
	v_fmamk_f32 v66, v44, 0xbf737871, v64
	v_fmac_f32_e32 v55, 0xbf167918, v117
	s_delay_alu instid0(VALU_DEP_3) | instskip(SKIP_1) | instid1(VALU_DEP_4)
	v_dual_fmac_f32 v58, 0x3e9e377a, v51 :: v_dual_fmac_f32 v59, 0x3e9e377a, v49
	v_fmac_f32_e32 v61, 0x3f167918, v116
	v_fmac_f32_e32 v66, 0xbf167918, v52
	s_delay_alu instid0(VALU_DEP_4)
	v_fmac_f32_e32 v55, 0x3e9e377a, v49
	v_dual_sub_f32 v49, v28, v132 :: v_dual_fmac_f32 v62, 0x3e9e377a, v51
	v_dual_sub_f32 v51, v42, v129 :: v_dual_fmac_f32 v64, 0x3f737871, v44
	v_fmac_f32_e32 v57, 0xbf167918, v116
	v_fma_f32 v63, -0.5, v26, v47
	v_sub_f32_e32 v26, v86, v31
	s_delay_alu instid0(VALU_DEP_4) | instskip(SKIP_4) | instid1(VALU_DEP_4)
	v_add_f32_e32 v49, v49, v51
	v_sub_f32_e32 v67, v88, v148
	v_fmac_f32_e32 v61, 0x3e9e377a, v65
	v_fmac_f32_e32 v57, 0x3e9e377a, v65
	v_dual_sub_f32 v73, v28, v42 :: v_dual_fmac_f32 v64, 0x3f167918, v52
	v_dual_fmac_f32 v66, 0x3e9e377a, v49 :: v_dual_add_f32 v51, v26, v67
	v_add_f32_e32 v26, v68, v54
	v_add_f32_e32 v54, v28, v42
	s_delay_alu instid0(VALU_DEP_4) | instskip(SKIP_2) | instid1(VALU_DEP_4)
	v_fmac_f32_e32 v64, 0x3e9e377a, v49
	v_dual_fmamk_f32 v65, v73, 0x3f737871, v63 :: v_dual_sub_f32 v74, v132, v129
	v_sub_f32_e32 v49, v132, v28
	v_fma_f32 v68, -0.5, v54, v77
	v_fmac_f32_e32 v63, 0xbf737871, v73
	v_dual_add_f32 v28, v28, v77 :: v_dual_fmac_f32 v5, 0x3e9e377a, v70
	v_fmac_f32_e32 v0, 0x3e9e377a, v72
	v_fmac_f32_e32 v65, 0x3f167918, v74
	v_dual_sub_f32 v67, v129, v42 :: v_dual_fmamk_f32 v70, v52, 0x3f737871, v68
	v_fmac_f32_e32 v68, 0xbf737871, v52
	v_dual_fmac_f32 v63, 0xbf167918, v74 :: v_dual_add_f32 v28, v132, v28
	s_delay_alu instid0(VALU_DEP_4) | instskip(NEXT) | instid1(VALU_DEP_4)
	v_dual_fmac_f32 v65, 0x3e9e377a, v51 :: v_dual_sub_f32 v54, v31, v86
	v_fmac_f32_e32 v70, 0xbf167918, v44
	s_delay_alu instid0(VALU_DEP_3)
	v_dual_fmac_f32 v63, 0x3e9e377a, v51 :: v_dual_add_f32 v28, v129, v28
	v_fmac_f32_e32 v68, 0x3f167918, v44
	v_dual_sub_f32 v77, v148, v88 :: v_dual_fmac_f32 v20, 0x3e9e377a, v71
	ds_load_2addr_b32 v[71:72], v80 offset0:101 offset1:118
	v_add_f32_e32 v42, v42, v28
	s_wait_loadcnt 0x0
	v_mul_f32_e32 v28, v39, v103
	v_dual_add_f32 v44, v54, v77 :: v_dual_add_f32 v49, v49, v67
	v_add_f32_e32 v51, v86, v88
	v_fmac_f32_e32 v10, 0xbf167918, v136
	v_dual_mul_f32 v84, v131, v105 :: v_dual_fmac_f32 v15, 0x3e9e377a, v83
	v_fmac_f32_e32 v12, 0x3e9e377a, v89
	v_fmac_f32_e32 v70, 0x3e9e377a, v49
	v_fma_f32 v67, -0.5, v51, v47
	ds_load_2addr_b32 v[51:52], v126 offset0:119 offset1:136
	v_dual_fmac_f32 v17, 0x3e9e377a, v87 :: v_dual_fmac_f32 v10, 0x3e9e377a, v85
	v_dual_mul_f32 v54, v41, v99 :: v_dual_fmamk_f32 v69, v74, 0xbf737871, v67
	v_fmac_f32_e32 v67, 0x3f737871, v74
	s_wait_dscnt 0x1
	v_mul_f32_e32 v85, v72, v99
	s_delay_alu instid0(VALU_DEP_3) | instskip(SKIP_1) | instid1(VALU_DEP_3)
	v_fmac_f32_e32 v69, 0x3f167918, v73
	v_dual_fmac_f32 v68, 0x3e9e377a, v49 :: v_dual_add_f32 v47, v47, v86
	v_dual_fmac_f32 v84, v48, v104 :: v_dual_fmac_f32 v85, v41, v98
	s_delay_alu instid0(VALU_DEP_3) | instskip(NEXT) | instid1(VALU_DEP_3)
	v_fmac_f32_e32 v69, 0x3e9e377a, v44
	v_add_f32_e32 v31, v47, v31
	v_fma_f32 v47, v72, v98, -v54
	s_wait_dscnt 0x0
	v_fma_f32 v28, v52, v102, -v28
	v_mul_f32_e32 v52, v52, v103
	s_delay_alu instid0(VALU_DEP_1) | instskip(SKIP_1) | instid1(VALU_DEP_2)
	v_dual_mul_f32 v49, v48, v105 :: v_dual_fmac_f32 v52, v39, v102
	v_mul_f32_e32 v83, v133, v101
	v_fma_f32 v74, v131, v104, -v49
	s_delay_alu instid0(VALU_DEP_3) | instskip(NEXT) | instid1(VALU_DEP_3)
	v_dual_fmac_f32 v67, 0xbf167918, v73 :: v_dual_sub_f32 v98, v84, v52
	v_fmac_f32_e32 v83, v50, v100
	s_delay_alu instid0(VALU_DEP_3) | instskip(NEXT) | instid1(VALU_DEP_3)
	v_dual_mul_f32 v49, v50, v101 :: v_dual_sub_f32 v54, v28, v74
	v_dual_fmac_f32 v67, 0x3e9e377a, v44 :: v_dual_sub_f32 v44, v84, v85
	s_delay_alu instid0(VALU_DEP_3) | instskip(NEXT) | instid1(VALU_DEP_3)
	v_sub_f32_e32 v50, v52, v83
	v_fma_f32 v82, v133, v100, -v49
	v_sub_f32_e32 v87, v74, v47
	v_add_f32_e32 v41, v84, v85
	s_delay_alu instid0(VALU_DEP_3) | instskip(SKIP_1) | instid1(VALU_DEP_3)
	v_dual_sub_f32 v86, v28, v82 :: v_dual_add_f32 v49, v74, v47
	v_sub_f32_e32 v72, v83, v85
	v_fma_f32 v48, -0.5, v41, v46
	v_add_f32_e32 v41, v28, v82
	v_add_f32_e32 v31, v31, v148
	v_fma_f32 v49, -0.5, v49, v76
	v_sub_f32_e32 v89, v47, v82
	s_delay_alu instid0(VALU_DEP_4) | instskip(SKIP_1) | instid1(VALU_DEP_4)
	v_fma_f32 v78, -0.5, v41, v76
	v_sub_f32_e32 v39, v82, v47
	v_fmamk_f32 v73, v50, 0xbf737871, v49
	v_sub_f32_e32 v41, v74, v28
	v_add_f32_e32 v28, v28, v76
	s_delay_alu instid0(VALU_DEP_4) | instskip(SKIP_2) | instid1(VALU_DEP_4)
	v_dual_fmamk_f32 v80, v44, 0x3f737871, v78 :: v_dual_add_f32 v39, v54, v39
	v_sub_f32_e32 v54, v52, v84
	v_fmac_f32_e32 v78, 0xbf737871, v44
	v_dual_fmac_f32 v49, 0x3f737871, v50 :: v_dual_add_f32 v28, v74, v28
	s_delay_alu instid0(VALU_DEP_4) | instskip(NEXT) | instid1(VALU_DEP_4)
	v_fmac_f32_e32 v80, 0xbf167918, v50
	v_add_f32_e32 v54, v54, v72
	v_dual_fmamk_f32 v72, v86, 0x3f737871, v48 :: v_dual_sub_f32 v99, v85, v83
	v_fmac_f32_e32 v78, 0x3f167918, v50
	v_fmac_f32_e32 v48, 0xbf737871, v86
	;; [unrolled: 1-line block ×3, first 2 shown]
	s_delay_alu instid0(VALU_DEP_4) | instskip(SKIP_3) | instid1(VALU_DEP_4)
	v_fmac_f32_e32 v72, 0x3f167918, v87
	v_add_f32_e32 v77, v52, v83
	v_add_f32_e32 v98, v98, v99
	v_dual_fmac_f32 v48, 0xbf167918, v87 :: v_dual_add_f32 v89, v41, v89
	v_fmac_f32_e32 v72, 0x3e9e377a, v54
	s_delay_alu instid0(VALU_DEP_4) | instskip(SKIP_1) | instid1(VALU_DEP_4)
	v_fma_f32 v77, -0.5, v77, v46
	v_add_f32_e32 v28, v47, v28
	v_dual_fmac_f32 v48, 0x3e9e377a, v54 :: v_dual_add_f32 v41, v88, v31
	v_fmac_f32_e32 v78, 0x3e9e377a, v89
	s_delay_alu instid0(VALU_DEP_4) | instskip(SKIP_2) | instid1(VALU_DEP_3)
	v_fmamk_f32 v79, v87, 0xbf737871, v77
	v_dual_add_f32 v31, v46, v52 :: v_dual_mul_f32 v46, v40, v91
	v_dual_mul_f32 v50, v38, v95 :: v_dual_fmac_f32 v49, 0x3f167918, v44
	v_dual_mul_f32 v76, v51, v95 :: v_dual_fmac_f32 v79, 0x3f167918, v86
	v_dual_fmac_f32 v73, 0x3e9e377a, v39 :: v_dual_mul_f32 v44, v43, v97
	s_delay_alu instid0(VALU_DEP_4) | instskip(NEXT) | instid1(VALU_DEP_4)
	v_fma_f32 v52, v71, v90, -v46
	v_fmac_f32_e32 v49, 0x3e9e377a, v39
	s_delay_alu instid0(VALU_DEP_4)
	v_fmac_f32_e32 v79, 0x3e9e377a, v98
	v_dual_add_f32 v39, v82, v28 :: v_dual_mul_f32 v82, v75, v97
	v_dual_fmac_f32 v77, 0x3f737871, v87 :: v_dual_add_f32 v28, v31, v84
	ds_load_b32 v47, v109
	v_fma_f32 v31, v75, v96, -v44
	v_dual_mul_f32 v44, v45, v93 :: v_dual_fmac_f32 v77, 0xbf167918, v86
	v_mul_f32_e32 v84, v119, v93
	v_dual_mul_f32 v71, v71, v91 :: v_dual_fmac_f32 v76, v38, v94
	v_fma_f32 v54, v51, v94, -v50
	s_delay_alu instid0(VALU_DEP_3) | instskip(NEXT) | instid1(VALU_DEP_3)
	v_dual_fmac_f32 v77, 0x3e9e377a, v98 :: v_dual_fmac_f32 v84, v45, v92
	v_dual_fmac_f32 v71, v40, v90 :: v_dual_fmac_f32 v82, v43, v96
	s_delay_alu instid0(VALU_DEP_3) | instskip(SKIP_1) | instid1(VALU_DEP_3)
	v_dual_sub_f32 v45, v54, v31 :: v_dual_add_f32 v46, v31, v52
	v_fma_f32 v86, v119, v92, -v44
	v_dual_sub_f32 v40, v76, v84 :: v_dual_add_f32 v43, v82, v71
	v_add_f32_e32 v28, v28, v85
	s_delay_alu instid0(VALU_DEP_3)
	v_dual_sub_f32 v51, v84, v71 :: v_dual_sub_f32 v50, v86, v52
	s_wait_dscnt 0x0
	v_fma_f32 v44, -0.5, v46, v47
	v_fma_f32 v43, -0.5, v43, v81
	v_add_f32_e32 v38, v83, v28
	v_dual_sub_f32 v28, v54, v86 :: v_dual_sub_f32 v87, v31, v52
	s_delay_alu instid0(VALU_DEP_4) | instskip(SKIP_1) | instid1(VALU_DEP_3)
	v_dual_fmamk_f32 v46, v40, 0xbf737871, v44 :: v_dual_sub_f32 v85, v82, v71
	v_add_f32_e32 v83, v45, v50
	v_dual_fmamk_f32 v45, v28, 0x3f737871, v43 :: v_dual_add_f32 v74, v54, v86
	v_sub_f32_e32 v50, v76, v82
	s_delay_alu instid0(VALU_DEP_4) | instskip(NEXT) | instid1(VALU_DEP_3)
	v_dual_fmac_f32 v46, 0xbf167918, v85 :: v_dual_add_f32 v75, v76, v84
	v_fmac_f32_e32 v45, 0x3f167918, v87
	v_fmac_f32_e32 v80, 0x3e9e377a, v89
	s_delay_alu instid0(VALU_DEP_4) | instskip(SKIP_4) | instid1(VALU_DEP_4)
	v_add_f32_e32 v88, v50, v51
	v_fma_f32 v51, -0.5, v74, v47
	v_dual_fmac_f32 v46, 0x3e9e377a, v83 :: v_dual_sub_f32 v89, v31, v54
	v_fma_f32 v50, -0.5, v75, v81
	v_dual_sub_f32 v90, v52, v86 :: v_dual_sub_f32 v91, v82, v76
	v_dual_fmamk_f32 v75, v85, 0x3f737871, v51 :: v_dual_sub_f32 v92, v71, v84
	v_fmac_f32_e32 v51, 0xbf737871, v85
	v_dual_fmac_f32 v44, 0x3f737871, v40 :: v_dual_add_f32 v47, v54, v47
	v_add_f32_e32 v54, v81, v76
	v_dual_fmamk_f32 v74, v87, 0xbf737871, v50 :: v_dual_add_f32 v89, v89, v90
	s_delay_alu instid0(VALU_DEP_3) | instskip(NEXT) | instid1(VALU_DEP_4)
	v_dual_fmac_f32 v51, 0x3f167918, v40 :: v_dual_fmac_f32 v44, 0x3f167918, v85
	v_add_f32_e32 v31, v31, v47
	v_fmac_f32_e32 v75, 0xbf167918, v40
	v_dual_fmac_f32 v50, 0x3f737871, v87 :: v_dual_add_f32 v47, v54, v82
	v_fmac_f32_e32 v74, 0x3f167918, v28
	v_mul_hi_u32 v40, 0x44d72045, v125
	v_fmac_f32_e32 v43, 0xbf737871, v28
	s_delay_alu instid0(VALU_DEP_4)
	v_dual_fmac_f32 v50, 0xbf167918, v28 :: v_dual_add_f32 v47, v47, v71
	v_add_f32_e32 v28, v52, v31
	v_dual_add_f32 v90, v91, v92 :: v_dual_fmac_f32 v75, 0x3e9e377a, v89
	v_fmac_f32_e32 v51, 0x3e9e377a, v89
	v_add_nc_u32_e32 v89, 17, v125
	v_lshrrev_b32_e32 v40, 5, v40
	s_delay_alu instid0(VALU_DEP_4) | instskip(SKIP_1) | instid1(VALU_DEP_4)
	v_fmac_f32_e32 v50, 0x3e9e377a, v90
	v_dual_add_f32 v82, v86, v28 :: v_dual_add_f32 v81, v84, v47
	v_mul_hi_u32 v76, 0x44d72045, v89
	s_delay_alu instid0(VALU_DEP_4) | instskip(SKIP_1) | instid1(VALU_DEP_3)
	v_mul_lo_u32 v31, 0x77, v40
	v_dual_fmac_f32 v45, 0x3e9e377a, v88 :: v_dual_fmac_f32 v74, 0x3e9e377a, v90
	v_lshrrev_b32_e32 v40, 5, v76
	s_delay_alu instid0(VALU_DEP_3) | instskip(SKIP_2) | instid1(VALU_DEP_4)
	v_sub_nc_u32_e32 v47, v125, v31
	v_lshlrev_b64_e32 v[31:32], 3, v[32:33]
	v_add_co_u32 v33, vcc_lo, s6, v34
	v_mul_lo_u32 v28, 0x77, v40
	s_wait_alu 0xfffd
	v_add_co_ci_u32_e32 v34, vcc_lo, s7, v35, vcc_lo
	s_delay_alu instid0(VALU_DEP_3) | instskip(SKIP_2) | instid1(VALU_DEP_3)
	v_add_co_u32 v54, vcc_lo, v33, v31
	v_lshlrev_b32_e32 v33, 3, v47
	s_wait_alu 0xfffd
	v_add_co_ci_u32_e32 v71, vcc_lo, v34, v32, vcc_lo
	v_sub_nc_u32_e32 v28, v89, v28
	s_delay_alu instid0(VALU_DEP_3) | instskip(SKIP_1) | instid1(VALU_DEP_3)
	v_add_co_u32 v33, vcc_lo, v54, v33
	s_wait_alu 0xfffd
	v_add_co_ci_u32_e32 v34, vcc_lo, 0, v71, vcc_lo
	s_delay_alu instid0(VALU_DEP_3) | instskip(SKIP_3) | instid1(VALU_DEP_3)
	v_mad_co_u64_u32 v[31:32], null, 0x253, v40, v[28:29]
	v_dual_fmac_f32 v43, 0xbf167918, v87 :: v_dual_add_nc_u32 v28, 34, v125
	v_mov_b32_e32 v32, v53
	v_fmac_f32_e32 v44, 0x3e9e377a, v83
	v_mul_hi_u32 v35, 0x44d72045, v28
	s_delay_alu instid0(VALU_DEP_4)
	v_fmac_f32_e32 v43, 0x3e9e377a, v88
	v_add_nc_u32_e32 v52, 0x77, v31
	s_clause 0x3
	global_store_b64 v[33:34], v[81:82], off
	global_store_b64 v[33:34], v[43:44], off offset:952
	global_store_b64 v[33:34], v[50:51], off offset:1904
	global_store_b64 v[33:34], v[74:75], off offset:2856
	v_lshlrev_b64_e32 v[43:44], 3, v[31:32]
	global_store_b64 v[33:34], v[45:46], off offset:3808
	v_lshrrev_b32_e32 v40, 5, v35
	v_add_co_u32 v34, vcc_lo, v54, v43
	s_delay_alu instid0(VALU_DEP_2) | instskip(SKIP_2) | instid1(VALU_DEP_2)
	v_mul_lo_u32 v47, 0x77, v40
	s_wait_alu 0xfffd
	v_add_co_ci_u32_e32 v35, vcc_lo, v71, v44, vcc_lo
	v_sub_nc_u32_e32 v28, v28, v47
	s_delay_alu instid0(VALU_DEP_1) | instskip(SKIP_4) | instid1(VALU_DEP_2)
	v_mad_co_u64_u32 v[74:75], null, 0x253, v40, v[28:29]
	v_mov_b32_e32 v75, v53
	v_lshlrev_b64_e32 v[32:33], 3, v[52:53]
	v_add_nc_u32_e32 v52, 0xee, v31
	v_add_nc_u32_e32 v28, 51, v125
	v_lshlrev_b64_e32 v[43:44], 3, v[52:53]
	v_add_nc_u32_e32 v52, 0x165, v31
	v_add_co_u32 v32, vcc_lo, v54, v32
	s_wait_alu 0xfffd
	v_add_co_ci_u32_e32 v33, vcc_lo, v71, v33, vcc_lo
	s_delay_alu instid0(VALU_DEP_3) | instskip(SKIP_4) | instid1(VALU_DEP_4)
	v_lshlrev_b64_e32 v[45:46], 3, v[52:53]
	v_mul_hi_u32 v40, 0x44d72045, v28
	v_add_co_u32 v43, vcc_lo, v54, v43
	s_wait_alu 0xfffd
	v_add_co_ci_u32_e32 v44, vcc_lo, v71, v44, vcc_lo
	v_add_co_u32 v45, vcc_lo, v54, v45
	s_wait_alu 0xfffd
	v_add_co_ci_u32_e32 v46, vcc_lo, v71, v46, vcc_lo
	s_clause 0x3
	global_store_b64 v[34:35], v[38:39], off
	global_store_b64 v[32:33], v[48:49], off
	;; [unrolled: 1-line block ×4, first 2 shown]
	v_lshrrev_b32_e32 v35, 5, v40
	v_add_nc_u32_e32 v52, 0x1dc, v31
	v_lshlrev_b64_e32 v[31:32], 3, v[74:75]
	s_delay_alu instid0(VALU_DEP_3) | instskip(NEXT) | instid1(VALU_DEP_3)
	v_mul_lo_u32 v40, 0x77, v35
	v_lshlrev_b64_e32 v[50:51], 3, v[52:53]
	v_add_nc_u32_e32 v52, 0x77, v74
	s_delay_alu instid0(VALU_DEP_1) | instskip(NEXT) | instid1(VALU_DEP_4)
	v_lshlrev_b64_e32 v[33:34], 3, v[52:53]
	v_sub_nc_u32_e32 v28, v28, v40
	v_add_nc_u32_e32 v52, 0xee, v74
	v_add_co_u32 v50, vcc_lo, v54, v50
	s_wait_alu 0xfffd
	v_add_co_ci_u32_e32 v51, vcc_lo, v71, v51, vcc_lo
	v_mad_co_u64_u32 v[47:48], null, 0x253, v35, v[28:29]
	v_add_nc_u32_e32 v28, 0x44, v125
	v_lshlrev_b64_e32 v[38:39], 3, v[52:53]
	v_add_nc_u32_e32 v52, 0x165, v74
	v_add_co_u32 v31, vcc_lo, v54, v31
	s_delay_alu instid0(VALU_DEP_4)
	v_mul_hi_u32 v35, 0x44d72045, v28
	s_wait_alu 0xfffd
	v_add_co_ci_u32_e32 v32, vcc_lo, v71, v32, vcc_lo
	v_add_co_u32 v33, vcc_lo, v54, v33
	v_lshlrev_b64_e32 v[43:44], 3, v[52:53]
	s_wait_alu 0xfffd
	v_add_co_ci_u32_e32 v34, vcc_lo, v71, v34, vcc_lo
	v_add_co_u32 v38, vcc_lo, v54, v38
	v_add_nc_u32_e32 v52, 0x1dc, v74
	s_wait_alu 0xfffd
	v_add_co_ci_u32_e32 v39, vcc_lo, v71, v39, vcc_lo
	v_lshrrev_b32_e32 v35, 5, v35
	v_add_co_u32 v43, vcc_lo, v54, v43
	s_wait_alu 0xfffd
	v_add_co_ci_u32_e32 v44, vcc_lo, v71, v44, vcc_lo
	global_store_b64 v[50:51], v[72:73], off
	v_lshlrev_b64_e32 v[45:46], 3, v[52:53]
	s_clause 0x3
	global_store_b64 v[31:32], v[41:42], off
	global_store_b64 v[33:34], v[63:64], off
	;; [unrolled: 1-line block ×4, first 2 shown]
	v_mul_lo_u32 v42, 0x77, v35
	v_add_nc_u32_e32 v52, 0x77, v47
	v_mov_b32_e32 v48, v53
	v_add_co_u32 v45, vcc_lo, v54, v45
	s_wait_alu 0xfffd
	v_add_co_ci_u32_e32 v46, vcc_lo, v71, v46, vcc_lo
	v_sub_nc_u32_e32 v28, v28, v42
	v_lshlrev_b64_e32 v[33:34], 3, v[52:53]
	v_add_nc_u32_e32 v52, 0xee, v47
	v_lshlrev_b64_e32 v[31:32], 3, v[47:48]
	global_store_b64 v[45:46], v[65:66], off
	v_mad_co_u64_u32 v[44:45], null, 0x253, v35, v[28:29]
	v_add_nc_u32_e32 v28, 0x55, v125
	v_lshlrev_b64_e32 v[38:39], 3, v[52:53]
	v_add_nc_u32_e32 v52, 0x165, v47
	v_add_co_u32 v31, vcc_lo, v54, v31
	s_delay_alu instid0(VALU_DEP_4)
	v_mul_hi_u32 v35, 0x44d72045, v28
	s_wait_alu 0xfffd
	v_add_co_ci_u32_e32 v32, vcc_lo, v71, v32, vcc_lo
	v_add_co_u32 v33, vcc_lo, v54, v33
	v_lshlrev_b64_e32 v[40:41], 3, v[52:53]
	s_wait_alu 0xfffd
	v_add_co_ci_u32_e32 v34, vcc_lo, v71, v34, vcc_lo
	v_add_nc_u32_e32 v52, 0x1dc, v47
	v_add_co_u32 v38, vcc_lo, v54, v38
	s_wait_alu 0xfffd
	v_add_co_ci_u32_e32 v39, vcc_lo, v71, v39, vcc_lo
	v_lshrrev_b32_e32 v35, 5, v35
	v_add_co_u32 v40, vcc_lo, v54, v40
	v_lshlrev_b64_e32 v[42:43], 3, v[52:53]
	s_wait_alu 0xfffd
	v_add_co_ci_u32_e32 v41, vcc_lo, v71, v41, vcc_lo
	v_add_nc_u32_e32 v52, 0x77, v44
	s_clause 0x3
	global_store_b64 v[31:32], v[26:27], off
	global_store_b64 v[33:34], v[55:56], off
	;; [unrolled: 1-line block ×4, first 2 shown]
	v_mul_lo_u32 v40, 0x77, v35
	v_mov_b32_e32 v45, v53
	v_add_co_u32 v42, vcc_lo, v54, v42
	v_lshlrev_b64_e32 v[31:32], 3, v[52:53]
	v_add_nc_u32_e32 v52, 0xee, v44
	s_delay_alu instid0(VALU_DEP_4)
	v_lshlrev_b64_e32 v[26:27], 3, v[44:45]
	s_wait_alu 0xfffd
	v_add_co_ci_u32_e32 v43, vcc_lo, v71, v43, vcc_lo
	v_sub_nc_u32_e32 v28, v28, v40
	v_lshlrev_b64_e32 v[33:34], 3, v[52:53]
	v_add_nc_u32_e32 v52, 0x165, v44
	v_add_co_u32 v26, vcc_lo, v54, v26
	global_store_b64 v[42:43], v[59:60], off
	v_mad_co_u64_u32 v[42:43], null, 0x253, v35, v[28:29]
	v_mov_b32_e32 v43, v53
	v_lshlrev_b64_e32 v[38:39], 3, v[52:53]
	v_add_nc_u32_e32 v52, 0x1dc, v44
	s_wait_alu 0xfffd
	v_add_co_ci_u32_e32 v27, vcc_lo, v71, v27, vcc_lo
	v_add_co_u32 v31, vcc_lo, v54, v31
	v_add_nc_u32_e32 v28, 0x66, v125
	s_wait_alu 0xfffd
	v_add_co_ci_u32_e32 v32, vcc_lo, v71, v32, vcc_lo
	v_add_co_u32 v33, vcc_lo, v54, v33
	v_lshlrev_b64_e32 v[40:41], 3, v[52:53]
	s_wait_alu 0xfffd
	v_add_co_ci_u32_e32 v34, vcc_lo, v71, v34, vcc_lo
	v_mul_hi_u32 v35, 0x44d72045, v28
	v_add_co_u32 v38, vcc_lo, v54, v38
	v_add_nc_u32_e32 v52, 0x77, v42
	s_wait_alu 0xfffd
	v_add_co_ci_u32_e32 v39, vcc_lo, v71, v39, vcc_lo
	v_add_co_u32 v40, vcc_lo, v54, v40
	s_wait_alu 0xfffd
	v_add_co_ci_u32_e32 v41, vcc_lo, v71, v41, vcc_lo
	s_clause 0x3
	global_store_b64 v[26:27], v[36:37], off
	global_store_b64 v[31:32], v[18:19], off
	global_store_b64 v[33:34], v[20:21], off
	global_store_b64 v[38:39], v[29:30], off
	v_lshlrev_b64_e32 v[20:21], 3, v[52:53]
	v_add_nc_u32_e32 v52, 0xee, v42
	v_lshrrev_b32_e32 v31, 5, v35
	global_store_b64 v[40:41], v[24:25], off
	v_lshlrev_b64_e32 v[18:19], 3, v[42:43]
	v_lshlrev_b64_e32 v[24:25], 3, v[52:53]
	v_add_nc_u32_e32 v52, 0x165, v42
	v_mul_lo_u32 v29, 0x77, v31
	s_delay_alu instid0(VALU_DEP_4) | instskip(NEXT) | instid1(VALU_DEP_3)
	v_add_co_u32 v18, vcc_lo, v54, v18
	v_lshlrev_b64_e32 v[26:27], 3, v[52:53]
	v_add_nc_u32_e32 v52, 0x1dc, v42
	s_wait_alu 0xfffd
	v_add_co_ci_u32_e32 v19, vcc_lo, v71, v19, vcc_lo
	v_sub_nc_u32_e32 v28, v28, v29
	v_add_co_u32 v20, vcc_lo, v54, v20
	v_lshlrev_b64_e32 v[29:30], 3, v[52:53]
	s_wait_alu 0xfffd
	v_add_co_ci_u32_e32 v21, vcc_lo, v71, v21, vcc_lo
	v_add_co_u32 v24, vcc_lo, v54, v24
	s_wait_alu 0xfffd
	v_add_co_ci_u32_e32 v25, vcc_lo, v71, v25, vcc_lo
	v_mad_co_u64_u32 v[31:32], null, 0x253, v31, v[28:29]
	v_add_co_u32 v26, vcc_lo, v54, v26
	s_wait_alu 0xfffd
	v_add_co_ci_u32_e32 v27, vcc_lo, v71, v27, vcc_lo
	v_add_co_u32 v28, vcc_lo, v54, v29
	s_delay_alu instid0(VALU_DEP_4)
	v_add_nc_u32_e32 v52, 0x77, v31
	v_mov_b32_e32 v32, v53
	s_wait_alu 0xfffd
	v_add_co_ci_u32_e32 v29, vcc_lo, v71, v30, vcc_lo
	s_clause 0x4
	global_store_b64 v[18:19], v[22:23], off
	global_store_b64 v[20:21], v[10:11], off
	global_store_b64 v[24:25], v[12:13], off
	global_store_b64 v[26:27], v[16:17], off
	global_store_b64 v[28:29], v[14:15], off
	v_lshlrev_b64_e32 v[10:11], 3, v[52:53]
	v_add_nc_u32_e32 v52, 0xee, v31
	v_lshlrev_b64_e32 v[32:33], 3, v[31:32]
	s_delay_alu instid0(VALU_DEP_2) | instskip(SKIP_1) | instid1(VALU_DEP_3)
	v_lshlrev_b64_e32 v[14:15], 3, v[52:53]
	v_add_nc_u32_e32 v52, 0x165, v31
	v_add_co_u32 v12, vcc_lo, v54, v32
	s_wait_alu 0xfffd
	s_delay_alu instid0(VALU_DEP_4) | instskip(NEXT) | instid1(VALU_DEP_3)
	v_add_co_ci_u32_e32 v13, vcc_lo, v71, v33, vcc_lo
	v_lshlrev_b64_e32 v[16:17], 3, v[52:53]
	v_add_nc_u32_e32 v52, 0x1dc, v31
	v_add_co_u32 v10, vcc_lo, v54, v10
	s_wait_alu 0xfffd
	v_add_co_ci_u32_e32 v11, vcc_lo, v71, v11, vcc_lo
	v_add_co_u32 v14, vcc_lo, v54, v14
	v_lshlrev_b64_e32 v[18:19], 3, v[52:53]
	s_wait_alu 0xfffd
	v_add_co_ci_u32_e32 v15, vcc_lo, v71, v15, vcc_lo
	v_add_co_u32 v16, vcc_lo, v54, v16
	s_wait_alu 0xfffd
	v_add_co_ci_u32_e32 v17, vcc_lo, v71, v17, vcc_lo
	v_add_co_u32 v18, vcc_lo, v54, v18
	s_wait_alu 0xfffd
	v_add_co_ci_u32_e32 v19, vcc_lo, v71, v19, vcc_lo
	s_clause 0x4
	global_store_b64 v[12:13], v[8:9], off
	global_store_b64 v[10:11], v[0:1], off
	;; [unrolled: 1-line block ×5, first 2 shown]
.LBB0_22:
	s_nop 0
	s_sendmsg sendmsg(MSG_DEALLOC_VGPRS)
	s_endpgm
	.section	.rodata,"a",@progbits
	.p2align	6, 0x0
	.amdhsa_kernel fft_rtc_back_len595_factors_7_17_5_wgs_51_tpt_17_halfLds_sp_op_CI_CI_unitstride_sbrr_dirReg
		.amdhsa_group_segment_fixed_size 0
		.amdhsa_private_segment_fixed_size 0
		.amdhsa_kernarg_size 104
		.amdhsa_user_sgpr_count 2
		.amdhsa_user_sgpr_dispatch_ptr 0
		.amdhsa_user_sgpr_queue_ptr 0
		.amdhsa_user_sgpr_kernarg_segment_ptr 1
		.amdhsa_user_sgpr_dispatch_id 0
		.amdhsa_user_sgpr_private_segment_size 0
		.amdhsa_wavefront_size32 1
		.amdhsa_uses_dynamic_stack 0
		.amdhsa_enable_private_segment 0
		.amdhsa_system_sgpr_workgroup_id_x 1
		.amdhsa_system_sgpr_workgroup_id_y 0
		.amdhsa_system_sgpr_workgroup_id_z 0
		.amdhsa_system_sgpr_workgroup_info 0
		.amdhsa_system_vgpr_workitem_id 0
		.amdhsa_next_free_vgpr 213
		.amdhsa_next_free_sgpr 39
		.amdhsa_reserve_vcc 1
		.amdhsa_float_round_mode_32 0
		.amdhsa_float_round_mode_16_64 0
		.amdhsa_float_denorm_mode_32 3
		.amdhsa_float_denorm_mode_16_64 3
		.amdhsa_fp16_overflow 0
		.amdhsa_workgroup_processor_mode 1
		.amdhsa_memory_ordered 1
		.amdhsa_forward_progress 0
		.amdhsa_round_robin_scheduling 0
		.amdhsa_exception_fp_ieee_invalid_op 0
		.amdhsa_exception_fp_denorm_src 0
		.amdhsa_exception_fp_ieee_div_zero 0
		.amdhsa_exception_fp_ieee_overflow 0
		.amdhsa_exception_fp_ieee_underflow 0
		.amdhsa_exception_fp_ieee_inexact 0
		.amdhsa_exception_int_div_zero 0
	.end_amdhsa_kernel
	.text
.Lfunc_end0:
	.size	fft_rtc_back_len595_factors_7_17_5_wgs_51_tpt_17_halfLds_sp_op_CI_CI_unitstride_sbrr_dirReg, .Lfunc_end0-fft_rtc_back_len595_factors_7_17_5_wgs_51_tpt_17_halfLds_sp_op_CI_CI_unitstride_sbrr_dirReg
                                        ; -- End function
	.section	.AMDGPU.csdata,"",@progbits
; Kernel info:
; codeLenInByte = 28896
; NumSgprs: 41
; NumVgprs: 213
; ScratchSize: 0
; MemoryBound: 0
; FloatMode: 240
; IeeeMode: 1
; LDSByteSize: 0 bytes/workgroup (compile time only)
; SGPRBlocks: 5
; VGPRBlocks: 26
; NumSGPRsForWavesPerEU: 41
; NumVGPRsForWavesPerEU: 213
; Occupancy: 7
; WaveLimiterHint : 1
; COMPUTE_PGM_RSRC2:SCRATCH_EN: 0
; COMPUTE_PGM_RSRC2:USER_SGPR: 2
; COMPUTE_PGM_RSRC2:TRAP_HANDLER: 0
; COMPUTE_PGM_RSRC2:TGID_X_EN: 1
; COMPUTE_PGM_RSRC2:TGID_Y_EN: 0
; COMPUTE_PGM_RSRC2:TGID_Z_EN: 0
; COMPUTE_PGM_RSRC2:TIDIG_COMP_CNT: 0
	.text
	.p2alignl 7, 3214868480
	.fill 96, 4, 3214868480
	.type	__hip_cuid_2e23e07a8c7d6c4,@object ; @__hip_cuid_2e23e07a8c7d6c4
	.section	.bss,"aw",@nobits
	.globl	__hip_cuid_2e23e07a8c7d6c4
__hip_cuid_2e23e07a8c7d6c4:
	.byte	0                               ; 0x0
	.size	__hip_cuid_2e23e07a8c7d6c4, 1

	.ident	"AMD clang version 19.0.0git (https://github.com/RadeonOpenCompute/llvm-project roc-6.4.0 25133 c7fe45cf4b819c5991fe208aaa96edf142730f1d)"
	.section	".note.GNU-stack","",@progbits
	.addrsig
	.addrsig_sym __hip_cuid_2e23e07a8c7d6c4
	.amdgpu_metadata
---
amdhsa.kernels:
  - .args:
      - .actual_access:  read_only
        .address_space:  global
        .offset:         0
        .size:           8
        .value_kind:     global_buffer
      - .offset:         8
        .size:           8
        .value_kind:     by_value
      - .actual_access:  read_only
        .address_space:  global
        .offset:         16
        .size:           8
        .value_kind:     global_buffer
      - .actual_access:  read_only
        .address_space:  global
        .offset:         24
        .size:           8
        .value_kind:     global_buffer
      - .actual_access:  read_only
        .address_space:  global
        .offset:         32
        .size:           8
        .value_kind:     global_buffer
      - .offset:         40
        .size:           8
        .value_kind:     by_value
      - .actual_access:  read_only
        .address_space:  global
        .offset:         48
        .size:           8
        .value_kind:     global_buffer
      - .actual_access:  read_only
        .address_space:  global
        .offset:         56
        .size:           8
        .value_kind:     global_buffer
      - .offset:         64
        .size:           4
        .value_kind:     by_value
      - .actual_access:  read_only
        .address_space:  global
        .offset:         72
        .size:           8
        .value_kind:     global_buffer
      - .actual_access:  read_only
        .address_space:  global
        .offset:         80
        .size:           8
        .value_kind:     global_buffer
      - .actual_access:  read_only
        .address_space:  global
        .offset:         88
        .size:           8
        .value_kind:     global_buffer
      - .actual_access:  write_only
        .address_space:  global
        .offset:         96
        .size:           8
        .value_kind:     global_buffer
    .group_segment_fixed_size: 0
    .kernarg_segment_align: 8
    .kernarg_segment_size: 104
    .language:       OpenCL C
    .language_version:
      - 2
      - 0
    .max_flat_workgroup_size: 51
    .name:           fft_rtc_back_len595_factors_7_17_5_wgs_51_tpt_17_halfLds_sp_op_CI_CI_unitstride_sbrr_dirReg
    .private_segment_fixed_size: 0
    .sgpr_count:     41
    .sgpr_spill_count: 0
    .symbol:         fft_rtc_back_len595_factors_7_17_5_wgs_51_tpt_17_halfLds_sp_op_CI_CI_unitstride_sbrr_dirReg.kd
    .uniform_work_group_size: 1
    .uses_dynamic_stack: false
    .vgpr_count:     213
    .vgpr_spill_count: 0
    .wavefront_size: 32
    .workgroup_processor_mode: 1
amdhsa.target:   amdgcn-amd-amdhsa--gfx1201
amdhsa.version:
  - 1
  - 2
...

	.end_amdgpu_metadata
